;; amdgpu-corpus repo=ROCm/rocFFT kind=compiled arch=gfx1100 opt=O3
	.text
	.amdgcn_target "amdgcn-amd-amdhsa--gfx1100"
	.amdhsa_code_object_version 6
	.protected	fft_rtc_fwd_len1560_factors_13_2_2_10_3_wgs_156_tpt_156_dp_ip_CI_unitstride_sbrr_R2C_dirReg ; -- Begin function fft_rtc_fwd_len1560_factors_13_2_2_10_3_wgs_156_tpt_156_dp_ip_CI_unitstride_sbrr_R2C_dirReg
	.globl	fft_rtc_fwd_len1560_factors_13_2_2_10_3_wgs_156_tpt_156_dp_ip_CI_unitstride_sbrr_R2C_dirReg
	.p2align	8
	.type	fft_rtc_fwd_len1560_factors_13_2_2_10_3_wgs_156_tpt_156_dp_ip_CI_unitstride_sbrr_R2C_dirReg,@function
fft_rtc_fwd_len1560_factors_13_2_2_10_3_wgs_156_tpt_156_dp_ip_CI_unitstride_sbrr_R2C_dirReg: ; @fft_rtc_fwd_len1560_factors_13_2_2_10_3_wgs_156_tpt_156_dp_ip_CI_unitstride_sbrr_R2C_dirReg
; %bb.0:
	s_clause 0x2
	s_load_b128 s[4:7], s[0:1], 0x0
	s_load_b64 s[8:9], s[0:1], 0x50
	s_load_b64 s[10:11], s[0:1], 0x18
	v_mul_u32_u24_e32 v1, 0x1a5, v0
	v_mov_b32_e32 v3, 0
	v_mov_b32_e32 v4, 0
	s_delay_alu instid0(VALU_DEP_3) | instskip(SKIP_1) | instid1(VALU_DEP_1)
	v_lshrrev_b32_e32 v2, 16, v1
	v_mov_b32_e32 v1, 0
	v_dual_mov_b32 v6, v1 :: v_dual_add_nc_u32 v5, s15, v2
	s_waitcnt lgkmcnt(0)
	v_cmp_lt_u64_e64 s2, s[6:7], 2
	s_delay_alu instid0(VALU_DEP_1)
	s_and_b32 vcc_lo, exec_lo, s2
	s_cbranch_vccnz .LBB0_8
; %bb.1:
	s_load_b64 s[2:3], s[0:1], 0x10
	v_mov_b32_e32 v3, 0
	s_add_u32 s12, s10, 8
	v_mov_b32_e32 v4, 0
	s_addc_u32 s13, s11, 0
	s_mov_b64 s[16:17], 1
	s_waitcnt lgkmcnt(0)
	s_add_u32 s14, s2, 8
	s_addc_u32 s15, s3, 0
.LBB0_2:                                ; =>This Inner Loop Header: Depth=1
	s_load_b64 s[18:19], s[14:15], 0x0
                                        ; implicit-def: $vgpr7_vgpr8
	s_mov_b32 s2, exec_lo
	s_waitcnt lgkmcnt(0)
	v_or_b32_e32 v2, s19, v6
	s_delay_alu instid0(VALU_DEP_1)
	v_cmpx_ne_u64_e32 0, v[1:2]
	s_xor_b32 s3, exec_lo, s2
	s_cbranch_execz .LBB0_4
; %bb.3:                                ;   in Loop: Header=BB0_2 Depth=1
	v_cvt_f32_u32_e32 v2, s18
	v_cvt_f32_u32_e32 v7, s19
	s_sub_u32 s2, 0, s18
	s_subb_u32 s20, 0, s19
	s_delay_alu instid0(VALU_DEP_1) | instskip(NEXT) | instid1(VALU_DEP_1)
	v_fmac_f32_e32 v2, 0x4f800000, v7
	v_rcp_f32_e32 v2, v2
	s_waitcnt_depctr 0xfff
	v_mul_f32_e32 v2, 0x5f7ffffc, v2
	s_delay_alu instid0(VALU_DEP_1) | instskip(NEXT) | instid1(VALU_DEP_1)
	v_mul_f32_e32 v7, 0x2f800000, v2
	v_trunc_f32_e32 v7, v7
	s_delay_alu instid0(VALU_DEP_1) | instskip(SKIP_1) | instid1(VALU_DEP_2)
	v_fmac_f32_e32 v2, 0xcf800000, v7
	v_cvt_u32_f32_e32 v7, v7
	v_cvt_u32_f32_e32 v2, v2
	s_delay_alu instid0(VALU_DEP_2) | instskip(NEXT) | instid1(VALU_DEP_2)
	v_mul_lo_u32 v8, s2, v7
	v_mul_hi_u32 v9, s2, v2
	v_mul_lo_u32 v10, s20, v2
	s_delay_alu instid0(VALU_DEP_2) | instskip(SKIP_1) | instid1(VALU_DEP_2)
	v_add_nc_u32_e32 v8, v9, v8
	v_mul_lo_u32 v9, s2, v2
	v_add_nc_u32_e32 v8, v8, v10
	s_delay_alu instid0(VALU_DEP_2) | instskip(NEXT) | instid1(VALU_DEP_2)
	v_mul_hi_u32 v10, v2, v9
	v_mul_lo_u32 v11, v2, v8
	v_mul_hi_u32 v12, v2, v8
	v_mul_hi_u32 v13, v7, v9
	v_mul_lo_u32 v9, v7, v9
	v_mul_hi_u32 v14, v7, v8
	v_mul_lo_u32 v8, v7, v8
	v_add_co_u32 v10, vcc_lo, v10, v11
	v_add_co_ci_u32_e32 v11, vcc_lo, 0, v12, vcc_lo
	s_delay_alu instid0(VALU_DEP_2) | instskip(NEXT) | instid1(VALU_DEP_2)
	v_add_co_u32 v9, vcc_lo, v10, v9
	v_add_co_ci_u32_e32 v9, vcc_lo, v11, v13, vcc_lo
	v_add_co_ci_u32_e32 v10, vcc_lo, 0, v14, vcc_lo
	s_delay_alu instid0(VALU_DEP_2) | instskip(NEXT) | instid1(VALU_DEP_2)
	v_add_co_u32 v8, vcc_lo, v9, v8
	v_add_co_ci_u32_e32 v9, vcc_lo, 0, v10, vcc_lo
	s_delay_alu instid0(VALU_DEP_2) | instskip(NEXT) | instid1(VALU_DEP_2)
	v_add_co_u32 v2, vcc_lo, v2, v8
	v_add_co_ci_u32_e32 v7, vcc_lo, v7, v9, vcc_lo
	s_delay_alu instid0(VALU_DEP_2) | instskip(SKIP_1) | instid1(VALU_DEP_3)
	v_mul_hi_u32 v8, s2, v2
	v_mul_lo_u32 v10, s20, v2
	v_mul_lo_u32 v9, s2, v7
	s_delay_alu instid0(VALU_DEP_1) | instskip(SKIP_1) | instid1(VALU_DEP_2)
	v_add_nc_u32_e32 v8, v8, v9
	v_mul_lo_u32 v9, s2, v2
	v_add_nc_u32_e32 v8, v8, v10
	s_delay_alu instid0(VALU_DEP_2) | instskip(NEXT) | instid1(VALU_DEP_2)
	v_mul_hi_u32 v10, v2, v9
	v_mul_lo_u32 v11, v2, v8
	v_mul_hi_u32 v12, v2, v8
	v_mul_hi_u32 v13, v7, v9
	v_mul_lo_u32 v9, v7, v9
	v_mul_hi_u32 v14, v7, v8
	v_mul_lo_u32 v8, v7, v8
	v_add_co_u32 v10, vcc_lo, v10, v11
	v_add_co_ci_u32_e32 v11, vcc_lo, 0, v12, vcc_lo
	s_delay_alu instid0(VALU_DEP_2) | instskip(NEXT) | instid1(VALU_DEP_2)
	v_add_co_u32 v9, vcc_lo, v10, v9
	v_add_co_ci_u32_e32 v9, vcc_lo, v11, v13, vcc_lo
	v_add_co_ci_u32_e32 v10, vcc_lo, 0, v14, vcc_lo
	s_delay_alu instid0(VALU_DEP_2) | instskip(NEXT) | instid1(VALU_DEP_2)
	v_add_co_u32 v8, vcc_lo, v9, v8
	v_add_co_ci_u32_e32 v9, vcc_lo, 0, v10, vcc_lo
	s_delay_alu instid0(VALU_DEP_2) | instskip(NEXT) | instid1(VALU_DEP_2)
	v_add_co_u32 v2, vcc_lo, v2, v8
	v_add_co_ci_u32_e32 v13, vcc_lo, v7, v9, vcc_lo
	s_delay_alu instid0(VALU_DEP_2) | instskip(SKIP_1) | instid1(VALU_DEP_3)
	v_mul_hi_u32 v14, v5, v2
	v_mad_u64_u32 v[9:10], null, v6, v2, 0
	v_mad_u64_u32 v[7:8], null, v5, v13, 0
	;; [unrolled: 1-line block ×3, first 2 shown]
	s_delay_alu instid0(VALU_DEP_2) | instskip(NEXT) | instid1(VALU_DEP_3)
	v_add_co_u32 v2, vcc_lo, v14, v7
	v_add_co_ci_u32_e32 v7, vcc_lo, 0, v8, vcc_lo
	s_delay_alu instid0(VALU_DEP_2) | instskip(NEXT) | instid1(VALU_DEP_2)
	v_add_co_u32 v2, vcc_lo, v2, v9
	v_add_co_ci_u32_e32 v2, vcc_lo, v7, v10, vcc_lo
	v_add_co_ci_u32_e32 v7, vcc_lo, 0, v12, vcc_lo
	s_delay_alu instid0(VALU_DEP_2) | instskip(NEXT) | instid1(VALU_DEP_2)
	v_add_co_u32 v2, vcc_lo, v2, v11
	v_add_co_ci_u32_e32 v9, vcc_lo, 0, v7, vcc_lo
	s_delay_alu instid0(VALU_DEP_2) | instskip(SKIP_1) | instid1(VALU_DEP_3)
	v_mul_lo_u32 v10, s19, v2
	v_mad_u64_u32 v[7:8], null, s18, v2, 0
	v_mul_lo_u32 v11, s18, v9
	s_delay_alu instid0(VALU_DEP_2) | instskip(NEXT) | instid1(VALU_DEP_2)
	v_sub_co_u32 v7, vcc_lo, v5, v7
	v_add3_u32 v8, v8, v11, v10
	s_delay_alu instid0(VALU_DEP_1) | instskip(NEXT) | instid1(VALU_DEP_1)
	v_sub_nc_u32_e32 v10, v6, v8
	v_subrev_co_ci_u32_e64 v10, s2, s19, v10, vcc_lo
	v_add_co_u32 v11, s2, v2, 2
	s_delay_alu instid0(VALU_DEP_1) | instskip(SKIP_3) | instid1(VALU_DEP_3)
	v_add_co_ci_u32_e64 v12, s2, 0, v9, s2
	v_sub_co_u32 v13, s2, v7, s18
	v_sub_co_ci_u32_e32 v8, vcc_lo, v6, v8, vcc_lo
	v_subrev_co_ci_u32_e64 v10, s2, 0, v10, s2
	v_cmp_le_u32_e32 vcc_lo, s18, v13
	s_delay_alu instid0(VALU_DEP_3) | instskip(SKIP_1) | instid1(VALU_DEP_4)
	v_cmp_eq_u32_e64 s2, s19, v8
	v_cndmask_b32_e64 v13, 0, -1, vcc_lo
	v_cmp_le_u32_e32 vcc_lo, s19, v10
	v_cndmask_b32_e64 v14, 0, -1, vcc_lo
	v_cmp_le_u32_e32 vcc_lo, s18, v7
	;; [unrolled: 2-line block ×3, first 2 shown]
	v_cndmask_b32_e64 v15, 0, -1, vcc_lo
	v_cmp_eq_u32_e32 vcc_lo, s19, v10
	s_delay_alu instid0(VALU_DEP_2) | instskip(SKIP_3) | instid1(VALU_DEP_3)
	v_cndmask_b32_e64 v7, v15, v7, s2
	v_cndmask_b32_e32 v10, v14, v13, vcc_lo
	v_add_co_u32 v13, vcc_lo, v2, 1
	v_add_co_ci_u32_e32 v14, vcc_lo, 0, v9, vcc_lo
	v_cmp_ne_u32_e32 vcc_lo, 0, v10
	s_delay_alu instid0(VALU_DEP_2) | instskip(NEXT) | instid1(VALU_DEP_4)
	v_cndmask_b32_e32 v8, v14, v12, vcc_lo
	v_cndmask_b32_e32 v10, v13, v11, vcc_lo
	v_cmp_ne_u32_e32 vcc_lo, 0, v7
	s_delay_alu instid0(VALU_DEP_2)
	v_dual_cndmask_b32 v7, v2, v10 :: v_dual_cndmask_b32 v8, v9, v8
.LBB0_4:                                ;   in Loop: Header=BB0_2 Depth=1
	s_and_not1_saveexec_b32 s2, s3
	s_cbranch_execz .LBB0_6
; %bb.5:                                ;   in Loop: Header=BB0_2 Depth=1
	v_cvt_f32_u32_e32 v2, s18
	s_sub_i32 s3, 0, s18
	s_delay_alu instid0(VALU_DEP_1) | instskip(SKIP_2) | instid1(VALU_DEP_1)
	v_rcp_iflag_f32_e32 v2, v2
	s_waitcnt_depctr 0xfff
	v_mul_f32_e32 v2, 0x4f7ffffe, v2
	v_cvt_u32_f32_e32 v2, v2
	s_delay_alu instid0(VALU_DEP_1) | instskip(NEXT) | instid1(VALU_DEP_1)
	v_mul_lo_u32 v7, s3, v2
	v_mul_hi_u32 v7, v2, v7
	s_delay_alu instid0(VALU_DEP_1) | instskip(NEXT) | instid1(VALU_DEP_1)
	v_add_nc_u32_e32 v2, v2, v7
	v_mul_hi_u32 v2, v5, v2
	s_delay_alu instid0(VALU_DEP_1) | instskip(SKIP_1) | instid1(VALU_DEP_2)
	v_mul_lo_u32 v7, v2, s18
	v_add_nc_u32_e32 v8, 1, v2
	v_sub_nc_u32_e32 v7, v5, v7
	s_delay_alu instid0(VALU_DEP_1) | instskip(SKIP_1) | instid1(VALU_DEP_2)
	v_subrev_nc_u32_e32 v9, s18, v7
	v_cmp_le_u32_e32 vcc_lo, s18, v7
	v_dual_cndmask_b32 v7, v7, v9 :: v_dual_cndmask_b32 v2, v2, v8
	s_delay_alu instid0(VALU_DEP_1) | instskip(NEXT) | instid1(VALU_DEP_2)
	v_cmp_le_u32_e32 vcc_lo, s18, v7
	v_add_nc_u32_e32 v8, 1, v2
	s_delay_alu instid0(VALU_DEP_1)
	v_dual_cndmask_b32 v7, v2, v8 :: v_dual_mov_b32 v8, v1
.LBB0_6:                                ;   in Loop: Header=BB0_2 Depth=1
	s_or_b32 exec_lo, exec_lo, s2
	s_load_b64 s[2:3], s[12:13], 0x0
	s_delay_alu instid0(VALU_DEP_1) | instskip(NEXT) | instid1(VALU_DEP_2)
	v_mul_lo_u32 v2, v8, s18
	v_mul_lo_u32 v11, v7, s19
	v_mad_u64_u32 v[9:10], null, v7, s18, 0
	s_add_u32 s16, s16, 1
	s_addc_u32 s17, s17, 0
	s_add_u32 s12, s12, 8
	s_addc_u32 s13, s13, 0
	;; [unrolled: 2-line block ×3, first 2 shown]
	s_delay_alu instid0(VALU_DEP_1) | instskip(SKIP_1) | instid1(VALU_DEP_2)
	v_add3_u32 v2, v10, v11, v2
	v_sub_co_u32 v9, vcc_lo, v5, v9
	v_sub_co_ci_u32_e32 v2, vcc_lo, v6, v2, vcc_lo
	s_waitcnt lgkmcnt(0)
	s_delay_alu instid0(VALU_DEP_2) | instskip(NEXT) | instid1(VALU_DEP_2)
	v_mul_lo_u32 v10, s3, v9
	v_mul_lo_u32 v2, s2, v2
	v_mad_u64_u32 v[5:6], null, s2, v9, v[3:4]
	v_cmp_ge_u64_e64 s2, s[16:17], s[6:7]
	s_delay_alu instid0(VALU_DEP_1) | instskip(NEXT) | instid1(VALU_DEP_2)
	s_and_b32 vcc_lo, exec_lo, s2
	v_add3_u32 v4, v10, v6, v2
	s_delay_alu instid0(VALU_DEP_3)
	v_mov_b32_e32 v3, v5
	s_cbranch_vccnz .LBB0_9
; %bb.7:                                ;   in Loop: Header=BB0_2 Depth=1
	v_dual_mov_b32 v5, v7 :: v_dual_mov_b32 v6, v8
	s_branch .LBB0_2
.LBB0_8:
	v_dual_mov_b32 v8, v6 :: v_dual_mov_b32 v7, v5
.LBB0_9:
	s_lshl_b64 s[2:3], s[6:7], 3
	v_mul_hi_u32 v5, 0x1a41a42, v0
	s_add_u32 s2, s10, s2
	s_addc_u32 s3, s11, s3
	s_load_b64 s[2:3], s[2:3], 0x0
	s_load_b64 s[0:1], s[0:1], 0x20
	s_waitcnt lgkmcnt(0)
	v_mul_lo_u32 v6, s2, v8
	v_mul_lo_u32 v9, s3, v7
	v_mad_u64_u32 v[1:2], null, s2, v7, v[3:4]
	v_mul_u32_u24_e32 v3, 0x9c, v5
	v_cmp_gt_u64_e32 vcc_lo, s[0:1], v[7:8]
	s_delay_alu instid0(VALU_DEP_2) | instskip(NEXT) | instid1(VALU_DEP_4)
	v_sub_nc_u32_e32 v60, v0, v3
	v_add3_u32 v2, v9, v2, v6
	s_delay_alu instid0(VALU_DEP_2) | instskip(NEXT) | instid1(VALU_DEP_2)
	v_lshl_add_u32 v160, v60, 4, 0
	v_lshlrev_b64 v[62:63], 4, v[1:2]
	s_and_saveexec_b32 s1, vcc_lo
	s_cbranch_execz .LBB0_11
; %bb.10:
	v_mov_b32_e32 v61, 0
	s_delay_alu instid0(VALU_DEP_2) | instskip(NEXT) | instid1(VALU_DEP_1)
	v_add_co_u32 v2, s0, s8, v62
	v_add_co_ci_u32_e64 v3, s0, s9, v63, s0
	s_delay_alu instid0(VALU_DEP_3) | instskip(NEXT) | instid1(VALU_DEP_1)
	v_lshlrev_b64 v[0:1], 4, v[60:61]
	v_add_co_u32 v16, s0, v2, v0
	s_delay_alu instid0(VALU_DEP_1) | instskip(SKIP_4) | instid1(VALU_DEP_1)
	v_add_co_ci_u32_e64 v17, s0, v3, v1, s0
	s_clause 0x1
	global_load_b128 v[0:3], v[16:17], off
	global_load_b128 v[4:7], v[16:17], off offset:2496
	v_add_co_u32 v12, s0, 0x1000, v16
	v_add_co_ci_u32_e64 v13, s0, 0, v17, s0
	v_add_co_u32 v18, s0, 0x2000, v16
	s_delay_alu instid0(VALU_DEP_1) | instskip(SKIP_1) | instid1(VALU_DEP_1)
	v_add_co_ci_u32_e64 v19, s0, 0, v17, s0
	v_add_co_u32 v24, s0, 0x3000, v16
	v_add_co_ci_u32_e64 v25, s0, 0, v17, s0
	v_add_co_u32 v32, s0, 0x4000, v16
	s_delay_alu instid0(VALU_DEP_1) | instskip(SKIP_1) | instid1(VALU_DEP_1)
	v_add_co_ci_u32_e64 v33, s0, 0, v17, s0
	v_add_co_u32 v36, s0, 0x5000, v16
	v_add_co_ci_u32_e64 v37, s0, 0, v17, s0
	s_clause 0x7
	global_load_b128 v[8:11], v[12:13], off offset:896
	global_load_b128 v[12:15], v[12:13], off offset:3392
	;; [unrolled: 1-line block ×8, first 2 shown]
	s_waitcnt vmcnt(9)
	ds_store_b128 v160, v[0:3]
	s_waitcnt vmcnt(8)
	ds_store_b128 v160, v[4:7] offset:2496
	s_waitcnt vmcnt(7)
	ds_store_b128 v160, v[8:11] offset:4992
	;; [unrolled: 2-line block ×9, first 2 shown]
.LBB0_11:
	s_or_b32 exec_lo, exec_lo, s1
	s_waitcnt lgkmcnt(0)
	s_barrier
	buffer_gl0_inv
	ds_load_b128 v[8:11], v160 offset:23040
	ds_load_b128 v[36:39], v160 offset:1920
	ds_load_b128 v[24:27], v160
	ds_load_b128 v[12:15], v160 offset:21120
	ds_load_b128 v[48:51], v160 offset:3840
	;; [unrolled: 1-line block ×3, first 2 shown]
	s_mov_b32 s2, 0x42a4c3d2
	s_mov_b32 s6, 0x66966769
	;; [unrolled: 1-line block ×4, first 2 shown]
	ds_load_b128 v[16:19], v160 offset:19200
	s_mov_b32 s10, 0x1ea71119
	s_mov_b32 s14, 0x2ef20147
	;; [unrolled: 1-line block ×8, first 2 shown]
	ds_load_b128 v[20:23], v160 offset:17280
	ds_load_b128 v[56:59], v160 offset:7680
	s_mov_b32 s18, 0xb2365da1
	s_mov_b32 s16, 0x93053d00
	;; [unrolled: 1-line block ×3, first 2 shown]
	s_waitcnt lgkmcnt(7)
	v_add_f64 v[102:103], v[38:39], -v[10:11]
	v_add_f64 v[104:105], v[36:37], -v[8:9]
	s_waitcnt lgkmcnt(4)
	v_add_f64 v[88:89], v[50:51], -v[14:15]
	v_add_f64 v[90:91], v[48:49], -v[12:13]
	v_add_f64 v[96:97], v[36:37], v[8:9]
	v_add_f64 v[156:157], v[38:39], v[10:11]
	;; [unrolled: 1-line block ×3, first 2 shown]
	s_waitcnt lgkmcnt(2)
	v_add_f64 v[132:133], v[46:47], -v[18:19]
	v_add_f64 v[106:107], v[44:45], -v[16:17]
	v_add_f64 v[142:143], v[50:51], v[14:15]
	s_mov_b32 s17, 0xbfef11f4
	s_mov_b32 s21, 0x3fedeba7
	;; [unrolled: 1-line block ×3, first 2 shown]
	v_add_f64 v[98:99], v[44:45], v[16:17]
	v_add_f64 v[152:153], v[46:47], v[18:19]
	ds_load_b128 v[52:55], v160 offset:9600
	ds_load_b128 v[28:31], v160 offset:15360
	s_waitcnt lgkmcnt(2)
	v_add_f64 v[94:95], v[58:59], -v[22:23]
	v_add_f64 v[114:115], v[56:57], -v[20:21]
	s_mov_b32 s24, 0x24c2f84
	s_mov_b32 s34, 0x4267c47c
	;; [unrolled: 1-line block ×4, first 2 shown]
	v_add_f64 v[82:83], v[56:57], v[20:21]
	v_add_f64 v[158:159], v[58:59], v[22:23]
	s_mov_b32 s28, 0xd0032e0c
	s_mov_b32 s30, 0xe00740e9
	;; [unrolled: 1-line block ×8, first 2 shown]
	s_mov_b32 s33, exec_lo
	s_waitcnt lgkmcnt(0)
	v_add_f64 v[80:81], v[54:55], -v[30:31]
	v_add_f64 v[68:69], v[52:53], -v[28:29]
	v_mul_f64 v[116:117], v[102:103], s[2:3]
	v_mul_f64 v[120:121], v[104:105], s[2:3]
	;; [unrolled: 1-line block ×12, first 2 shown]
	v_add_f64 v[76:77], v[52:53], v[28:29]
	v_add_f64 v[100:101], v[54:55], v[30:31]
	v_mul_f64 v[126:127], v[94:95], s[24:25]
	v_mul_f64 v[128:129], v[114:115], s[24:25]
	v_mul_f64 v[130:131], v[94:95], s[34:35]
	v_mul_f64 v[148:149], v[114:115], s[34:35]
	v_mul_f64 v[134:135], v[80:81], s[26:27]
	v_mul_f64 v[136:137], v[68:69], s[26:27]
	v_fma_f64 v[0:1], v[96:97], s[10:11], v[116:117]
	v_fma_f64 v[2:3], v[156:157], s[10:11], -v[120:121]
	v_fma_f64 v[4:5], v[96:97], s[22:23], v[140:141]
	v_fma_f64 v[6:7], v[156:157], s[22:23], -v[144:145]
	;; [unrolled: 2-line block ×6, first 2 shown]
	v_mul_f64 v[150:151], v[80:81], s[2:3]
	v_mul_f64 v[154:155], v[68:69], s[2:3]
	v_fma_f64 v[161:162], v[82:83], s[28:29], v[126:127]
	v_fma_f64 v[163:164], v[158:159], s[28:29], -v[128:129]
	v_fma_f64 v[165:166], v[82:83], s[30:31], v[130:131]
	v_fma_f64 v[167:168], v[158:159], s[30:31], -v[148:149]
	;; [unrolled: 2-line block ×3, first 2 shown]
	v_add_f64 v[0:1], v[24:25], v[0:1]
	v_add_f64 v[2:3], v[26:27], v[2:3]
	;; [unrolled: 1-line block ×4, first 2 shown]
	v_fma_f64 v[173:174], v[76:77], s[10:11], v[150:151]
	v_fma_f64 v[175:176], v[100:101], s[10:11], -v[154:155]
	v_add_f64 v[0:1], v[32:33], v[0:1]
	v_add_f64 v[2:3], v[34:35], v[2:3]
	v_add_f64 v[4:5], v[40:41], v[4:5]
	v_add_f64 v[6:7], v[42:43], v[6:7]
	ds_load_b128 v[40:43], v160 offset:11520
	ds_load_b128 v[32:35], v160 offset:13440
	s_waitcnt lgkmcnt(0)
	s_barrier
	buffer_gl0_inv
	v_add_f64 v[84:85], v[42:43], -v[34:35]
	v_add_f64 v[64:65], v[40:41], -v[32:33]
	v_add_f64 v[86:87], v[42:43], v[34:35]
	v_add_f64 v[0:1], v[66:67], v[0:1]
	;; [unrolled: 1-line block ×6, first 2 shown]
	v_mul_f64 v[70:71], v[84:85], s[34:35]
	v_mul_f64 v[72:73], v[64:65], s[34:35]
	;; [unrolled: 1-line block ×4, first 2 shown]
	v_add_f64 v[0:1], v[161:162], v[0:1]
	v_add_f64 v[2:3], v[163:164], v[2:3]
	;; [unrolled: 1-line block ×4, first 2 shown]
	v_fma_f64 v[161:162], v[66:67], s[30:31], v[70:71]
	v_fma_f64 v[163:164], v[86:87], s[30:31], -v[72:73]
	v_fma_f64 v[165:166], v[66:67], s[28:29], v[74:75]
	v_fma_f64 v[167:168], v[86:87], s[28:29], -v[78:79]
	v_add_f64 v[0:1], v[169:170], v[0:1]
	v_add_f64 v[2:3], v[171:172], v[2:3]
	;; [unrolled: 1-line block ×4, first 2 shown]
	s_delay_alu instid0(VALU_DEP_4) | instskip(NEXT) | instid1(VALU_DEP_4)
	v_add_f64 v[4:5], v[161:162], v[0:1]
	v_add_f64 v[6:7], v[163:164], v[2:3]
	s_delay_alu instid0(VALU_DEP_4) | instskip(NEXT) | instid1(VALU_DEP_4)
	v_add_f64 v[0:1], v[165:166], v[169:170]
	v_add_f64 v[2:3], v[167:168], v[171:172]
	v_cmpx_gt_u32_e32 0x78, v60
	s_cbranch_execz .LBB0_13
; %bb.12:
	v_add_f64 v[38:39], v[26:27], v[38:39]
	v_add_f64 v[36:37], v[24:25], v[36:37]
	v_mul_f64 v[161:162], v[156:157], s[22:23]
	v_mul_f64 v[165:166], v[96:97], s[10:11]
	;; [unrolled: 1-line block ×3, first 2 shown]
	s_mov_b32 s39, 0xbfddbe06
	s_mov_b32 s38, s34
	v_mul_f64 v[163:164], v[102:103], s[14:15]
	s_mov_b32 s1, 0x3fcea1e5
	s_mov_b32 s0, s12
	v_mul_f64 v[169:170], v[100:101], s[10:11]
	v_mul_f64 v[171:172], v[158:159], s[30:31]
	v_mul_f64 v[173:174], v[152:153], s[18:19]
	v_mul_f64 v[175:176], v[142:143], s[16:17]
	v_mul_f64 v[177:178], v[76:77], s[10:11]
	v_mul_f64 v[179:180], v[82:83], s[30:31]
	v_mul_f64 v[181:182], v[98:99], s[18:19]
	v_mul_f64 v[183:184], v[92:93], s[16:17]
	v_mul_f64 v[185:186], v[100:101], s[22:23]
	v_mul_f64 v[187:188], v[158:159], s[28:29]
	v_mul_f64 v[201:202], v[158:159], s[10:11]
	v_mul_f64 v[189:190], v[152:153], s[16:17]
	v_mul_f64 v[191:192], v[142:143], s[18:19]
	v_mul_f64 v[193:194], v[82:83], s[28:29]
	v_mul_f64 v[195:196], v[76:77], s[22:23]
	v_mul_f64 v[197:198], v[98:99], s[16:17]
	v_mul_f64 v[199:200], v[92:93], s[18:19]
	v_mul_f64 v[203:204], v[158:159], s[16:17]
	v_mul_f64 v[205:206], v[158:159], s[22:23]
	v_mul_f64 v[158:159], v[158:159], s[18:19]
	v_mul_f64 v[207:208], v[152:153], s[28:29]
	v_mul_f64 v[209:210], v[152:153], s[10:11]
	v_mul_f64 v[211:212], v[152:153], s[30:31]
	v_mul_f64 v[152:153], v[152:153], s[22:23]
	s_mov_b32 s41, 0x3fea55e2
	s_mov_b32 s40, s2
	v_add_f64 v[38:39], v[38:39], v[50:51]
	v_add_f64 v[36:37], v[36:37], v[48:49]
	v_mul_f64 v[48:49], v[156:157], s[28:29]
	v_mul_f64 v[50:51], v[102:103], s[36:37]
	v_add_f64 v[144:145], v[144:145], v[161:162]
	v_add_f64 v[120:121], v[120:121], v[167:168]
	v_add_f64 v[116:117], v[165:166], -v[116:117]
	v_add_f64 v[154:155], v[154:155], v[169:170]
	v_mul_f64 v[169:170], v[132:133], s[36:37]
	v_add_f64 v[148:149], v[148:149], v[171:172]
	v_mul_f64 v[171:172], v[132:133], s[2:3]
	v_add_f64 v[146:147], v[146:147], v[173:174]
	v_mul_f64 v[173:174], v[132:133], s[34:35]
	v_mul_f64 v[132:133], v[132:133], s[6:7]
	v_add_f64 v[138:139], v[138:139], v[175:176]
	v_mul_f64 v[175:176], v[88:89], s[34:35]
	v_add_f64 v[150:151], v[177:178], -v[150:151]
	v_mul_f64 v[177:178], v[88:89], s[26:27]
	v_add_f64 v[130:131], v[179:180], -v[130:131]
	v_add_f64 v[124:125], v[181:182], -v[124:125]
	;; [unrolled: 1-line block ×3, first 2 shown]
	v_fma_f64 v[183:184], v[96:97], s[18:19], v[163:164]
	v_fma_f64 v[163:164], v[96:97], s[18:19], -v[163:164]
	v_add_f64 v[136:137], v[136:137], v[185:186]
	v_add_f64 v[128:129], v[128:129], v[187:188]
	v_fma_f64 v[185:186], v[114:115], s[2:3], v[201:202]
	v_fma_f64 v[187:188], v[114:115], s[40:41], v[201:202]
	v_add_f64 v[122:123], v[122:123], v[189:190]
	v_add_f64 v[110:111], v[110:111], v[191:192]
	v_add_f64 v[134:135], v[195:196], -v[134:135]
	v_add_f64 v[126:127], v[193:194], -v[126:127]
	;; [unrolled: 1-line block ×4, first 2 shown]
	v_fma_f64 v[189:190], v[114:115], s[12:13], v[203:204]
	v_fma_f64 v[191:192], v[114:115], s[0:1], v[203:204]
	v_add_f64 v[38:39], v[38:39], v[46:47]
	v_add_f64 v[36:37], v[36:37], v[44:45]
	v_mul_f64 v[44:45], v[156:157], s[16:17]
	v_mul_f64 v[46:47], v[102:103], s[12:13]
	;; [unrolled: 1-line block ×3, first 2 shown]
	v_fma_f64 v[181:182], v[96:97], s[28:29], v[50:51]
	v_fma_f64 v[50:51], v[96:97], s[28:29], -v[50:51]
	v_fma_f64 v[193:194], v[114:115], s[26:27], v[205:206]
	v_fma_f64 v[195:196], v[114:115], s[6:7], v[205:206]
	;; [unrolled: 1-line block ×9, first 2 shown]
	v_add_f64 v[144:145], v[26:27], v[144:145]
	v_add_f64 v[120:121], v[26:27], v[120:121]
	;; [unrolled: 1-line block ×3, first 2 shown]
	v_fma_f64 v[213:214], v[92:93], s[22:23], v[177:178]
	v_fma_f64 v[177:178], v[92:93], s[22:23], -v[177:178]
	v_add_f64 v[183:184], v[24:25], v[183:184]
	v_add_f64 v[163:164], v[24:25], v[163:164]
	;; [unrolled: 1-line block ×4, first 2 shown]
	v_mul_f64 v[56:57], v[156:157], s[18:19]
	v_mul_f64 v[58:59], v[96:97], s[22:23]
	;; [unrolled: 1-line block ×3, first 2 shown]
	v_fma_f64 v[161:162], v[104:105], s[0:1], v[44:45]
	v_fma_f64 v[44:45], v[104:105], s[12:13], v[44:45]
	;; [unrolled: 1-line block ×3, first 2 shown]
	v_fma_f64 v[46:47], v[96:97], s[16:17], -v[46:47]
	v_fma_f64 v[201:202], v[96:97], s[30:31], v[102:103]
	v_fma_f64 v[96:97], v[96:97], s[30:31], -v[102:103]
	v_fma_f64 v[102:103], v[106:107], s[40:41], v[209:210]
	v_add_f64 v[181:182], v[24:25], v[181:182]
	v_add_f64 v[50:51], v[24:25], v[50:51]
	;; [unrolled: 1-line block ×5, first 2 shown]
	v_mul_f64 v[144:145], v[80:81], s[34:35]
	v_mul_f64 v[120:121], v[86:87], s[18:19]
	;; [unrolled: 1-line block ×3, first 2 shown]
	v_add_f64 v[38:39], v[38:39], v[54:55]
	v_add_f64 v[36:37], v[36:37], v[52:53]
	v_mul_f64 v[52:53], v[142:143], s[30:31]
	v_mul_f64 v[54:55], v[142:143], s[22:23]
	v_add_f64 v[58:59], v[58:59], -v[140:141]
	v_fma_f64 v[140:141], v[104:105], s[24:25], v[48:49]
	v_fma_f64 v[48:49], v[104:105], s[36:37], v[48:49]
	;; [unrolled: 1-line block ×6, first 2 shown]
	v_mul_f64 v[156:157], v[142:143], s[28:29]
	v_mul_f64 v[142:143], v[142:143], s[10:11]
	v_add_f64 v[161:162], v[26:27], v[161:162]
	v_add_f64 v[179:180], v[24:25], v[179:180]
	;; [unrolled: 1-line block ×5, first 2 shown]
	v_mul_f64 v[177:178], v[100:101], s[16:17]
	v_add_f64 v[138:139], v[146:147], v[138:139]
	v_add_f64 v[110:111], v[122:123], v[110:111]
	;; [unrolled: 1-line block ×3, first 2 shown]
	v_fma_f64 v[122:123], v[76:77], s[30:31], v[144:145]
	v_add_f64 v[38:39], v[38:39], v[42:43]
	v_add_f64 v[36:37], v[36:37], v[40:41]
	v_fma_f64 v[40:41], v[106:107], s[26:27], v[152:153]
	v_fma_f64 v[42:43], v[106:107], s[6:7], v[152:153]
	;; [unrolled: 1-line block ×6, first 2 shown]
	v_add_f64 v[140:141], v[26:27], v[140:141]
	v_add_f64 v[48:49], v[26:27], v[48:49]
	;; [unrolled: 1-line block ×3, first 2 shown]
	v_fma_f64 v[209:210], v[90:91], s[36:37], v[156:157]
	v_fma_f64 v[156:157], v[90:91], s[24:25], v[156:157]
	;; [unrolled: 1-line block ×4, first 2 shown]
	v_mul_f64 v[142:143], v[88:89], s[24:25]
	v_mul_f64 v[88:89], v[88:89], s[2:3]
	v_add_f64 v[56:57], v[26:27], v[56:57]
	v_add_f64 v[58:59], v[24:25], v[58:59]
	;; [unrolled: 1-line block ×6, first 2 shown]
	v_fma_f64 v[96:97], v[98:99], s[28:29], v[169:170]
	v_fma_f64 v[169:170], v[98:99], s[28:29], -v[169:170]
	v_fma_f64 v[201:202], v[98:99], s[10:11], v[171:172]
	v_fma_f64 v[171:172], v[98:99], s[10:11], -v[171:172]
	v_add_f64 v[110:111], v[128:129], v[110:111]
	v_add_f64 v[108:109], v[126:127], v[108:109]
	;; [unrolled: 1-line block ×4, first 2 shown]
	v_fma_f64 v[36:37], v[98:99], s[30:31], v[173:174]
	v_fma_f64 v[38:39], v[98:99], s[30:31], -v[173:174]
	v_fma_f64 v[173:174], v[98:99], s[22:23], v[132:133]
	v_fma_f64 v[98:99], v[98:99], s[22:23], -v[132:133]
	;; [unrolled: 2-line block ×3, first 2 shown]
	v_add_f64 v[44:45], v[52:53], v[44:45]
	v_mul_f64 v[52:53], v[94:95], s[6:7]
	v_add_f64 v[140:141], v[152:153], v[140:141]
	v_mul_f64 v[152:153], v[94:95], s[40:41]
	v_add_f64 v[48:49], v[54:55], v[48:49]
	v_add_f64 v[167:168], v[209:210], v[167:168]
	v_mul_f64 v[54:55], v[100:101], s[30:31]
	v_fma_f64 v[215:216], v[92:93], s[28:29], v[142:143]
	v_fma_f64 v[142:143], v[92:93], s[28:29], -v[142:143]
	v_fma_f64 v[217:218], v[92:93], s[10:11], v[88:89]
	v_fma_f64 v[88:89], v[92:93], s[10:11], -v[88:89]
	v_add_f64 v[92:93], v[106:107], v[161:162]
	v_add_f64 v[56:57], v[156:157], v[56:57]
	;; [unrolled: 1-line block ×6, first 2 shown]
	v_mul_f64 v[156:157], v[80:81], s[14:15]
	v_add_f64 v[50:51], v[171:172], v[50:51]
	v_mul_f64 v[112:113], v[66:67], s[30:31]
	v_mul_f64 v[209:210], v[66:67], s[28:29]
	;; [unrolled: 1-line block ×3, first 2 shown]
	v_add_f64 v[30:31], v[34:35], v[30:31]
	v_add_f64 v[28:29], v[32:33], v[28:29]
	;; [unrolled: 1-line block ×3, first 2 shown]
	v_mul_f64 v[132:133], v[94:95], s[14:15]
	v_mul_f64 v[94:95], v[94:95], s[0:1]
	v_add_f64 v[46:47], v[175:176], v[46:47]
	v_mul_f64 v[175:176], v[100:101], s[18:19]
	v_mul_f64 v[100:101], v[100:101], s[28:29]
	v_add_f64 v[48:49], v[203:204], v[48:49]
	;; [unrolled: 3-line block ×3, first 2 shown]
	v_add_f64 v[142:143], v[142:143], v[163:164]
	v_add_f64 v[32:33], v[217:218], v[104:105]
	;; [unrolled: 1-line block ×3, first 2 shown]
	v_fma_f64 v[88:89], v[82:83], s[22:23], v[52:53]
	v_fma_f64 v[52:53], v[82:83], s[22:23], -v[52:53]
	v_add_f64 v[56:57], v[207:208], v[56:57]
	v_add_f64 v[58:59], v[124:125], v[58:59]
	;; [unrolled: 1-line block ×9, first 2 shown]
	v_mul_f64 v[158:159], v[86:87], s[30:31]
	v_mul_f64 v[183:184], v[86:87], s[22:23]
	;; [unrolled: 1-line block ×3, first 2 shown]
	v_fma_f64 v[124:125], v[76:77], s[30:31], -v[144:145]
	v_add_f64 v[70:71], v[112:113], -v[70:71]
	v_add_f64 v[74:75], v[209:210], -v[74:75]
	v_add_f64 v[22:23], v[30:31], v[22:23]
	v_add_f64 v[20:21], v[28:29], v[20:21]
	v_fma_f64 v[30:31], v[68:69], s[12:13], v[177:178]
	v_add_f64 v[96:97], v[96:97], v[106:107]
	v_fma_f64 v[34:35], v[82:83], s[18:19], v[132:133]
	v_fma_f64 v[104:105], v[82:83], s[18:19], -v[132:133]
	v_fma_f64 v[132:133], v[82:83], s[10:11], v[152:153]
	v_fma_f64 v[152:153], v[82:83], s[10:11], -v[152:153]
	;; [unrolled: 2-line block ×3, first 2 shown]
	v_add_f64 v[46:47], v[169:170], v[46:47]
	v_fma_f64 v[169:170], v[68:69], s[38:39], v[54:55]
	v_add_f64 v[36:37], v[36:37], v[181:182]
	v_add_f64 v[38:39], v[38:39], v[142:143]
	v_add_f64 v[28:29], v[173:174], v[32:33]
	v_add_f64 v[24:25], v[98:99], v[24:25]
	v_fma_f64 v[54:55], v[68:69], s[34:35], v[54:55]
	v_fma_f64 v[32:33], v[68:69], s[0:1], v[177:178]
	v_add_f64 v[48:49], v[191:192], v[48:49]
	v_add_f64 v[56:57], v[195:196], v[56:57]
	v_mul_f64 v[94:95], v[86:87], s[28:29]
	v_add_f64 v[58:59], v[130:131], v[58:59]
	v_mul_f64 v[86:87], v[86:87], s[16:17]
	v_mul_f64 v[106:107], v[84:85], s[12:13]
	;; [unrolled: 1-line block ×3, first 2 shown]
	v_fma_f64 v[199:200], v[68:69], s[20:21], v[175:176]
	v_fma_f64 v[175:176], v[68:69], s[14:15], v[175:176]
	;; [unrolled: 1-line block ×5, first 2 shown]
	v_fma_f64 v[100:101], v[76:77], s[18:19], -v[156:157]
	v_fma_f64 v[142:143], v[76:77], s[28:29], v[179:180]
	v_fma_f64 v[144:145], v[76:77], s[28:29], -v[179:180]
	v_fma_f64 v[165:166], v[76:77], s[16:17], v[80:81]
	v_fma_f64 v[76:77], v[76:77], s[16:17], -v[80:81]
	v_add_f64 v[80:81], v[185:186], v[92:93]
	v_add_f64 v[44:45], v[187:188], v[44:45]
	;; [unrolled: 1-line block ×7, first 2 shown]
	v_fma_f64 v[146:147], v[64:65], s[6:7], v[183:184]
	v_fma_f64 v[156:157], v[66:67], s[22:23], v[163:164]
	v_add_f64 v[92:93], v[132:133], v[96:97]
	v_add_f64 v[96:97], v[189:190], v[102:103]
	;; [unrolled: 1-line block ×11, first 2 shown]
	v_fma_f64 v[34:35], v[64:65], s[14:15], v[120:121]
	v_add_f64 v[48:49], v[54:55], v[48:49]
	v_add_f64 v[32:33], v[32:33], v[56:57]
	;; [unrolled: 1-line block ×3, first 2 shown]
	v_fma_f64 v[104:105], v[64:65], s[2:3], v[90:91]
	v_fma_f64 v[90:91], v[64:65], s[40:41], v[90:91]
	v_add_f64 v[78:79], v[78:79], v[94:95]
	v_add_f64 v[58:59], v[150:151], v[58:59]
	v_fma_f64 v[161:162], v[64:65], s[26:27], v[183:184]
	v_fma_f64 v[163:164], v[66:67], s[22:23], -v[163:164]
	v_fma_f64 v[22:23], v[64:65], s[20:21], v[120:121]
	v_fma_f64 v[28:29], v[66:67], s[18:19], v[116:117]
	v_fma_f64 v[88:89], v[66:67], s[18:19], -v[116:117]
	v_fma_f64 v[94:95], v[64:65], s[0:1], v[86:87]
	v_fma_f64 v[112:113], v[66:67], s[16:17], v[106:107]
	;; [unrolled: 1-line block ×3, first 2 shown]
	v_fma_f64 v[86:87], v[66:67], s[16:17], -v[106:107]
	v_fma_f64 v[106:107], v[66:67], s[10:11], v[84:85]
	v_fma_f64 v[66:67], v[66:67], s[10:11], -v[84:85]
	v_add_f64 v[44:45], v[175:176], v[44:45]
	v_add_f64 v[80:81], v[199:200], v[80:81]
	;; [unrolled: 1-line block ×40, first 2 shown]
	v_mad_u32_u24 v52, 0xc0, v60, v160
	ds_store_b128 v52, v[0:3] offset:160
	ds_store_b128 v52, v[4:7] offset:176
	ds_store_b128 v52, v[36:39] offset:32
	ds_store_b128 v52, v[32:35] offset:48
	ds_store_b128 v52, v[28:31] offset:64
	ds_store_b128 v52, v[24:27] offset:80
	ds_store_b128 v52, v[16:19] offset:96
	ds_store_b128 v52, v[12:15] offset:112
	ds_store_b128 v52, v[20:23] offset:128
	ds_store_b128 v52, v[40:43] offset:144
	ds_store_b128 v52, v[48:51] offset:16
	ds_store_b128 v52, v[8:11]
	ds_store_b128 v52, v[44:47] offset:192
.LBB0_13:
	s_or_b32 exec_lo, exec_lo, s33
	v_add_nc_u32_e32 v52, 0x9c, v60
	v_add_nc_u32_e32 v51, 0x138, v60
	v_and_b32_e32 v8, 0xff, v60
	v_add_nc_u32_e32 v50, 0x1d4, v60
	v_add_nc_u32_e32 v49, 0x270, v60
	v_and_b32_e32 v9, 0xffff, v52
	v_and_b32_e32 v10, 0xffff, v51
	v_mul_lo_u16 v8, 0x4f, v8
	v_and_b32_e32 v11, 0xffff, v50
	s_waitcnt lgkmcnt(0)
	v_mul_u32_u24_e32 v59, 0x4ec5, v9
	v_and_b32_e32 v9, 0xffff, v49
	v_mul_u32_u24_e32 v61, 0x4ec5, v10
	v_lshrrev_b16 v72, 10, v8
	v_mul_u32_u24_e32 v73, 0x4ec5, v11
	v_lshrrev_b32_e32 v74, 18, v59
	v_mul_u32_u24_e32 v75, 0x4ec5, v9
	v_lshrrev_b32_e32 v76, 18, v61
	v_mul_lo_u16 v9, v72, 13
	v_lshrrev_b32_e32 v77, 18, v73
	v_mul_lo_u16 v10, v74, 13
	;; [unrolled: 2-line block ×3, first 2 shown]
	v_sub_nc_u16 v9, v60, v9
	v_mul_lo_u16 v12, v77, 13
	v_sub_nc_u16 v10, v52, v10
	v_mul_lo_u16 v13, v78, 13
	v_sub_nc_u16 v11, v51, v11
	v_and_b32_e32 v9, 0xff, v9
	v_sub_nc_u16 v12, v50, v12
	v_and_b32_e32 v10, 0xffff, v10
	;; [unrolled: 2-line block ×3, first 2 shown]
	v_lshlrev_b32_e32 v79, 4, v9
	v_and_b32_e32 v14, 0xffff, v12
	v_lshlrev_b32_e32 v80, 4, v10
	v_and_b32_e32 v17, 0xffff, v13
	s_barrier
	buffer_gl0_inv
	v_lshlrev_b32_e32 v81, 4, v11
	global_load_b128 v[9:12], v79, s[4:5]
	v_lshlrev_b32_e32 v82, 4, v14
	global_load_b128 v[13:16], v80, s[4:5]
	v_lshlrev_b32_e32 v83, 4, v17
	s_clause 0x2
	global_load_b128 v[17:20], v81, s[4:5]
	global_load_b128 v[21:24], v82, s[4:5]
	global_load_b128 v[25:28], v83, s[4:5]
	ds_load_b128 v[29:32], v160 offset:12480
	ds_load_b128 v[33:36], v160 offset:14976
	;; [unrolled: 1-line block ×6, first 2 shown]
	v_lshrrev_b16 v84, 11, v8
	v_lshrrev_b32_e32 v59, 19, v59
	v_lshrrev_b32_e32 v61, 19, v61
	s_mov_b32 s2, 0x134454ff
	s_mov_b32 s3, 0x3fee6f0e
	;; [unrolled: 1-line block ×12, first 2 shown]
	s_waitcnt vmcnt(4) lgkmcnt(5)
	v_mul_f64 v[57:58], v[31:32], v[11:12]
	v_mul_f64 v[11:12], v[29:30], v[11:12]
	s_waitcnt vmcnt(3) lgkmcnt(4)
	v_mul_f64 v[64:65], v[35:36], v[15:16]
	v_mul_f64 v[15:16], v[33:34], v[15:16]
	;; [unrolled: 3-line block ×5, first 2 shown]
	v_fma_f64 v[29:30], v[29:30], v[9:10], -v[57:58]
	v_fma_f64 v[31:32], v[31:32], v[9:10], v[11:12]
	v_fma_f64 v[33:34], v[33:34], v[13:14], -v[64:65]
	v_fma_f64 v[35:36], v[35:36], v[13:14], v[15:16]
	;; [unrolled: 2-line block ×5, first 2 shown]
	ds_load_b128 v[9:12], v160
	ds_load_b128 v[13:16], v160 offset:2496
	ds_load_b128 v[17:20], v160 offset:4992
	;; [unrolled: 1-line block ×3, first 2 shown]
	v_mul_lo_u16 v57, v84, 26
	v_mul_lo_u16 v64, v59, 26
	;; [unrolled: 1-line block ×3, first 2 shown]
	s_waitcnt lgkmcnt(0)
	s_barrier
	v_sub_nc_u16 v57, v60, v57
	v_sub_nc_u16 v64, v52, v64
	;; [unrolled: 1-line block ×3, first 2 shown]
	buffer_gl0_inv
	v_and_b32_e32 v57, 0xff, v57
	v_add_f64 v[25:26], v[9:10], -v[29:30]
	v_add_f64 v[27:28], v[11:12], -v[31:32]
	;; [unrolled: 1-line block ×10, first 2 shown]
	v_and_b32_e32 v45, 0xffff, v72
	v_lshrrev_b32_e32 v72, 19, v73
	v_lshrrev_b32_e32 v73, 19, v75
	s_delay_alu instid0(VALU_DEP_3) | instskip(NEXT) | instid1(VALU_DEP_3)
	v_mul_u32_u24_e32 v58, 0x1a0, v45
	v_mul_lo_u16 v66, v72, 26
	s_delay_alu instid0(VALU_DEP_3) | instskip(NEXT) | instid1(VALU_DEP_3)
	v_mul_lo_u16 v67, v73, 26
	v_add3_u32 v58, 0, v58, v79
	s_delay_alu instid0(VALU_DEP_3) | instskip(NEXT) | instid1(VALU_DEP_3)
	v_sub_nc_u16 v66, v50, v66
	v_sub_nc_u16 v49, v49, v67
	s_delay_alu instid0(VALU_DEP_1) | instskip(NEXT) | instid1(VALU_DEP_1)
	v_and_b32_e32 v49, 0xffff, v49
	v_lshlrev_b32_e32 v49, 4, v49
	v_fma_f64 v[9:10], v[9:10], 2.0, -v[25:26]
	v_fma_f64 v[11:12], v[11:12], 2.0, -v[27:28]
	;; [unrolled: 1-line block ×10, first 2 shown]
	v_mul_u32_u24_e32 v53, 0x1a0, v74
	v_lshlrev_b32_e32 v74, 4, v57
	v_and_b32_e32 v57, 0xffff, v64
	v_mul_u32_u24_e32 v54, 0x1a0, v76
	v_mul_u32_u24_e32 v55, 0x1a0, v77
	;; [unrolled: 1-line block ×3, first 2 shown]
	v_and_b32_e32 v64, 0xffff, v65
	v_and_b32_e32 v65, 0xffff, v66
	v_lshlrev_b32_e32 v75, 4, v57
	v_add3_u32 v53, 0, v53, v80
	v_add3_u32 v54, 0, v54, v81
	;; [unrolled: 1-line block ×4, first 2 shown]
	v_lshlrev_b32_e32 v76, 4, v64
	v_lshlrev_b32_e32 v77, 4, v65
	ds_store_b128 v58, v[9:12]
	ds_store_b128 v58, v[25:28] offset:208
	ds_store_b128 v53, v[13:16]
	ds_store_b128 v53, v[29:32] offset:208
	;; [unrolled: 2-line block ×5, first 2 shown]
	s_waitcnt lgkmcnt(0)
	s_barrier
	buffer_gl0_inv
	s_clause 0x4
	global_load_b128 v[9:12], v74, s[4:5] offset:208
	global_load_b128 v[13:16], v75, s[4:5] offset:208
	;; [unrolled: 1-line block ×5, first 2 shown]
	ds_load_b128 v[29:32], v160 offset:12480
	ds_load_b128 v[33:36], v160 offset:14976
	;; [unrolled: 1-line block ×6, first 2 shown]
	s_waitcnt vmcnt(2) lgkmcnt(3)
	v_mul_f64 v[66:67], v[39:40], v[19:20]
	v_mul_f64 v[57:58], v[31:32], v[11:12]
	;; [unrolled: 1-line block ×6, first 2 shown]
	s_waitcnt vmcnt(1) lgkmcnt(2)
	v_mul_f64 v[68:69], v[43:44], v[23:24]
	v_mul_f64 v[23:24], v[41:42], v[23:24]
	s_waitcnt vmcnt(0) lgkmcnt(1)
	v_mul_f64 v[70:71], v[47:48], v[27:28]
	v_mul_f64 v[27:28], v[45:46], v[27:28]
	v_fma_f64 v[37:38], v[37:38], v[17:18], -v[66:67]
	v_fma_f64 v[29:30], v[29:30], v[9:10], -v[57:58]
	v_fma_f64 v[9:10], v[31:32], v[9:10], v[11:12]
	v_fma_f64 v[11:12], v[33:34], v[13:14], -v[64:65]
	v_fma_f64 v[35:36], v[35:36], v[13:14], v[15:16]
	v_fma_f64 v[39:40], v[39:40], v[17:18], v[19:20]
	v_fma_f64 v[41:42], v[41:42], v[21:22], -v[68:69]
	v_fma_f64 v[43:44], v[43:44], v[21:22], v[23:24]
	v_fma_f64 v[45:46], v[45:46], v[25:26], -v[70:71]
	v_fma_f64 v[47:48], v[47:48], v[25:26], v[27:28]
	ds_load_b128 v[13:16], v160
	ds_load_b128 v[17:20], v160 offset:2496
	ds_load_b128 v[21:24], v160 offset:4992
	;; [unrolled: 1-line block ×3, first 2 shown]
	v_mul_u32_u24_e32 v57, 0x340, v61
	v_mul_u32_u24_e32 v58, 0x340, v72
	s_waitcnt lgkmcnt(0)
	s_barrier
	buffer_gl0_inv
	v_add_f64 v[37:38], v[21:22], -v[37:38]
	v_add_f64 v[29:30], v[13:14], -v[29:30]
	;; [unrolled: 1-line block ×10, first 2 shown]
	v_lshrrev_b16 v12, 12, v8
	v_fma_f64 v[8:9], v[13:14], 2.0, -v[29:30]
	v_fma_f64 v[10:11], v[15:16], 2.0, -v[31:32]
	;; [unrolled: 1-line block ×10, first 2 shown]
	v_mul_lo_u16 v13, v12, 52
	v_and_b32_e32 v26, 0xffff, v84
	v_mul_u32_u24_e32 v27, 0x340, v59
	v_mul_u32_u24_e32 v59, 0x340, v73
	v_and_b32_e32 v12, 0xffff, v12
	v_sub_nc_u16 v13, v60, v13
	v_mul_u32_u24_e32 v26, 0x340, v26
	v_add3_u32 v27, 0, v27, v75
	v_add3_u32 v49, 0, v59, v49
	v_mul_u32_u24_e32 v12, 0x2080, v12
	v_and_b32_e32 v13, 0xff, v13
	v_add3_u32 v26, 0, v26, v74
	s_delay_alu instid0(VALU_DEP_2) | instskip(SKIP_1) | instid1(VALU_DEP_2)
	v_mul_u32_u24_e32 v28, 9, v13
	v_lshlrev_b32_e32 v13, 4, v13
	v_lshlrev_b32_e32 v61, 4, v28
	v_add3_u32 v28, 0, v57, v76
	v_add3_u32 v57, 0, v58, v77
	ds_store_b128 v26, v[8:11]
	ds_store_b128 v26, v[29:32] offset:416
	ds_store_b128 v27, v[14:17]
	ds_store_b128 v27, v[33:36] offset:416
	;; [unrolled: 2-line block ×5, first 2 shown]
	s_waitcnt lgkmcnt(0)
	s_barrier
	buffer_gl0_inv
	s_clause 0x8
	global_load_b128 v[8:11], v61, s[4:5] offset:656
	global_load_b128 v[14:17], v61, s[4:5] offset:688
	;; [unrolled: 1-line block ×9, first 2 shown]
	ds_load_b128 v[46:49], v160 offset:7488
	ds_load_b128 v[53:56], v160 offset:12480
	;; [unrolled: 1-line block ×6, first 2 shown]
	v_add3_u32 v12, 0, v12, v13
	s_waitcnt vmcnt(8) lgkmcnt(5)
	v_mul_f64 v[57:58], v[48:49], v[10:11]
	s_waitcnt vmcnt(7) lgkmcnt(4)
	v_mul_f64 v[80:81], v[55:56], v[16:17]
	v_mul_f64 v[16:17], v[53:54], v[16:17]
	s_waitcnt vmcnt(6) lgkmcnt(3)
	v_mul_f64 v[82:83], v[64:65], v[20:21]
	s_waitcnt vmcnt(5) lgkmcnt(2)
	v_mul_f64 v[84:85], v[68:69], v[24:25]
	v_mul_f64 v[24:25], v[70:71], v[24:25]
	;; [unrolled: 1-line block ×4, first 2 shown]
	s_waitcnt vmcnt(4) lgkmcnt(1)
	v_mul_f64 v[86:87], v[74:75], v[28:29]
	v_mul_f64 v[28:29], v[72:73], v[28:29]
	v_fma_f64 v[46:47], v[46:47], v[8:9], -v[57:58]
	v_fma_f64 v[53:54], v[53:54], v[14:15], -v[80:81]
	v_fma_f64 v[55:56], v[55:56], v[14:15], v[16:17]
	v_fma_f64 v[57:58], v[66:67], v[18:19], v[82:83]
	;; [unrolled: 1-line block ×3, first 2 shown]
	v_fma_f64 v[22:23], v[68:69], v[22:23], -v[24:25]
	v_fma_f64 v[24:25], v[64:65], v[18:19], -v[20:21]
	v_fma_f64 v[48:49], v[48:49], v[8:9], v[10:11]
	ds_load_b128 v[8:11], v160 offset:9984
	ds_load_b128 v[14:17], v160 offset:14976
	;; [unrolled: 1-line block ×3, first 2 shown]
	s_waitcnt vmcnt(3) lgkmcnt(3)
	v_mul_f64 v[64:65], v[78:79], v[32:33]
	v_mul_f64 v[32:33], v[76:77], v[32:33]
	v_fma_f64 v[72:73], v[72:73], v[26:27], -v[86:87]
	v_fma_f64 v[26:27], v[74:75], v[26:27], v[28:29]
	s_waitcnt vmcnt(2) lgkmcnt(2)
	v_mul_f64 v[68:69], v[10:11], v[36:37]
	v_mul_f64 v[36:37], v[8:9], v[36:37]
	s_waitcnt vmcnt(1) lgkmcnt(1)
	v_mul_f64 v[70:71], v[16:17], v[40:41]
	s_waitcnt vmcnt(0) lgkmcnt(0)
	v_mul_f64 v[80:81], v[20:21], v[44:45]
	v_mul_f64 v[40:41], v[14:15], v[40:41]
	;; [unrolled: 1-line block ×3, first 2 shown]
	v_add_f64 v[86:87], v[53:54], -v[46:47]
	v_add_f64 v[28:29], v[55:56], v[57:58]
	v_add_f64 v[92:93], v[66:67], -v[57:58]
	v_add_f64 v[82:83], v[46:47], v[22:23]
	v_add_f64 v[84:85], v[53:54], v[24:25]
	v_add_f64 v[74:75], v[48:49], v[66:67]
	v_add_f64 v[88:89], v[24:25], -v[22:23]
	v_fma_f64 v[64:65], v[76:77], v[30:31], -v[64:65]
	v_fma_f64 v[30:31], v[78:79], v[30:31], v[32:33]
	v_add_f64 v[90:91], v[48:49], -v[55:56]
	v_add_f64 v[94:95], v[55:56], -v[48:49]
	;; [unrolled: 1-line block ×3, first 2 shown]
	v_fma_f64 v[32:33], v[8:9], v[34:35], -v[68:69]
	v_fma_f64 v[34:35], v[10:11], v[34:35], v[36:37]
	v_fma_f64 v[14:15], v[14:15], v[38:39], -v[70:71]
	v_fma_f64 v[18:19], v[18:19], v[42:43], -v[80:81]
	v_fma_f64 v[16:17], v[16:17], v[38:39], v[40:41]
	v_add_f64 v[36:37], v[48:49], -v[66:67]
	v_add_f64 v[40:41], v[46:47], -v[22:23]
	v_fma_f64 v[20:21], v[20:21], v[42:43], v[44:45]
	v_add_f64 v[38:39], v[55:56], -v[57:58]
	v_add_f64 v[42:43], v[53:54], -v[24:25]
	ds_load_b128 v[8:11], v160
	s_waitcnt lgkmcnt(0)
	s_barrier
	buffer_gl0_inv
	v_fma_f64 v[28:29], v[28:29], -0.5, v[26:27]
	v_fma_f64 v[68:69], v[82:83], -0.5, v[72:73]
	;; [unrolled: 1-line block ×4, first 2 shown]
	v_add_f64 v[82:83], v[46:47], -v[53:54]
	v_add_f64 v[84:85], v[22:23], -v[24:25]
	v_add_f64 v[46:47], v[72:73], v[46:47]
	v_add_f64 v[26:27], v[26:27], v[48:49]
	;; [unrolled: 1-line block ×7, first 2 shown]
	v_add_f64 v[110:111], v[34:35], -v[16:17]
	v_add_f64 v[114:115], v[64:65], -v[18:19]
	v_add_f64 v[80:81], v[30:31], v[20:21]
	v_add_f64 v[108:109], v[30:31], -v[20:21]
	v_add_f64 v[116:117], v[32:33], -v[14:15]
	v_fma_f64 v[98:99], v[40:41], s[0:1], v[28:29]
	v_fma_f64 v[28:29], v[40:41], s[2:3], v[28:29]
	;; [unrolled: 1-line block ×8, first 2 shown]
	v_add_f64 v[46:47], v[46:47], v[53:54]
	v_add_f64 v[26:27], v[26:27], v[55:56]
	v_fma_f64 v[48:49], v[74:75], -0.5, v[8:9]
	v_fma_f64 v[8:9], v[76:77], -0.5, v[8:9]
	;; [unrolled: 1-line block ×3, first 2 shown]
	v_add_f64 v[74:75], v[82:83], v[84:85]
	v_add_f64 v[76:77], v[86:87], v[88:89]
	;; [unrolled: 1-line block ×3, first 2 shown]
	v_fma_f64 v[10:11], v[80:81], -0.5, v[10:11]
	v_add_f64 v[80:81], v[94:95], v[96:97]
	v_add_f64 v[90:91], v[20:21], -v[16:17]
	v_add_f64 v[92:93], v[16:17], -v[20:21]
	v_fma_f64 v[82:83], v[42:43], s[6:7], v[98:99]
	v_fma_f64 v[28:29], v[42:43], s[10:11], v[28:29]
	;; [unrolled: 1-line block ×8, first 2 shown]
	v_add_f64 v[42:43], v[64:65], -v[32:33]
	v_add_f64 v[64:65], v[32:33], -v[64:65]
	;; [unrolled: 1-line block ×4, first 2 shown]
	v_add_f64 v[32:33], v[106:107], v[32:33]
	v_add_f64 v[34:35], v[112:113], v[34:35]
	v_add_f64 v[44:45], v[18:19], -v[14:15]
	v_add_f64 v[68:69], v[14:15], -v[18:19]
	v_add_f64 v[24:25], v[46:47], v[24:25]
	v_add_f64 v[26:27], v[26:27], v[57:58]
	v_fma_f64 v[53:54], v[108:109], s[2:3], v[48:49]
	v_fma_f64 v[48:49], v[108:109], s[0:1], v[48:49]
	;; [unrolled: 1-line block ×16, first 2 shown]
	v_add_f64 v[30:31], v[30:31], v[92:93]
	v_add_f64 v[14:15], v[32:33], v[14:15]
	;; [unrolled: 1-line block ×8, first 2 shown]
	v_fma_f64 v[32:33], v[110:111], s[10:11], v[53:54]
	v_fma_f64 v[34:35], v[110:111], s[6:7], v[48:49]
	;; [unrolled: 1-line block ×8, first 2 shown]
	v_mul_f64 v[57:58], v[82:83], s[10:11]
	v_mul_f64 v[80:81], v[28:29], s[14:15]
	;; [unrolled: 1-line block ×8, first 2 shown]
	v_add_f64 v[18:19], v[14:15], v[18:19]
	v_add_f64 v[20:21], v[16:17], v[20:21]
	v_fma_f64 v[66:67], v[42:43], s[12:13], v[32:33]
	v_fma_f64 v[90:91], v[42:43], s[12:13], v[34:35]
	;; [unrolled: 1-line block ×9, first 2 shown]
	v_fma_f64 v[40:41], v[40:41], s[2:3], -v[70:71]
	v_fma_f64 v[55:56], v[28:29], s[10:11], -v[72:73]
	v_fma_f64 v[57:58], v[82:83], s[14:15], v[74:75]
	v_fma_f64 v[46:47], v[36:37], s[12:13], v[68:69]
	;; [unrolled: 1-line block ×3, first 2 shown]
	v_fma_f64 v[68:69], v[86:87], s[0:1], -v[78:79]
	v_fma_f64 v[70:71], v[88:89], s[6:7], -v[80:81]
	v_cmp_gt_u32_e64 s0, 52, v60
	v_add_f64 v[14:15], v[18:19], v[22:23]
	v_add_f64 v[16:17], v[20:21], v[24:25]
	v_add_f64 v[18:19], v[18:19], -v[22:23]
	v_add_f64 v[20:21], v[20:21], -v[24:25]
	v_add_f64 v[22:23], v[66:67], v[38:39]
	v_add_f64 v[38:39], v[66:67], -v[38:39]
	v_add_f64 v[30:31], v[8:9], v[40:41]
	v_add_f64 v[34:35], v[90:91], v[55:56]
	;; [unrolled: 1-line block ×7, first 2 shown]
	v_add_f64 v[42:43], v[42:43], -v[46:47]
	v_add_f64 v[46:47], v[8:9], -v[40:41]
	;; [unrolled: 1-line block ×7, first 2 shown]
	ds_store_b128 v12, v[14:17]
	ds_store_b128 v12, v[22:25] offset:832
	ds_store_b128 v12, v[26:29] offset:1664
	;; [unrolled: 1-line block ×9, first 2 shown]
	s_waitcnt lgkmcnt(0)
	s_barrier
	buffer_gl0_inv
	ds_load_b128 v[20:23], v160
	ds_load_b128 v[12:15], v160 offset:2496
	ds_load_b128 v[36:39], v160 offset:16640
	;; [unrolled: 1-line block ×8, first 2 shown]
	s_and_saveexec_b32 s1, s0
	s_cbranch_execz .LBB0_15
; %bb.14:
	ds_load_b128 v[8:11], v160 offset:7488
	ds_load_b128 v[0:3], v160 offset:15808
	;; [unrolled: 1-line block ×3, first 2 shown]
.LBB0_15:
	s_or_b32 exec_lo, exec_lo, s1
	v_dual_mov_b32 v49, 0 :: v_dual_lshlrev_b32 v48, 1, v60
	s_mov_b32 s2, 0xe8584caa
	s_mov_b32 s3, 0x3febb67a
	;; [unrolled: 1-line block ×4, first 2 shown]
	v_lshlrev_b64 v[53:54], 4, v[48:49]
	v_lshlrev_b32_e32 v48, 1, v52
	s_delay_alu instid0(VALU_DEP_1) | instskip(NEXT) | instid1(VALU_DEP_3)
	v_lshlrev_b64 v[64:65], 4, v[48:49]
	v_add_co_u32 v55, s1, s4, v53
	s_delay_alu instid0(VALU_DEP_1) | instskip(SKIP_1) | instid1(VALU_DEP_3)
	v_add_co_ci_u32_e64 v54, s1, s5, v54, s1
	v_lshlrev_b32_e32 v48, 1, v51
	v_add_co_u32 v52, s1, 0x1000, v55
	s_delay_alu instid0(VALU_DEP_1) | instskip(SKIP_1) | instid1(VALU_DEP_1)
	v_add_co_ci_u32_e64 v53, s1, 0, v54, s1
	v_add_co_u32 v55, s1, 0x1fb0, v55
	v_add_co_ci_u32_e64 v56, s1, 0, v54, s1
	v_add_co_u32 v59, s1, s4, v64
	s_delay_alu instid0(VALU_DEP_1) | instskip(SKIP_1) | instid1(VALU_DEP_3)
	v_add_co_ci_u32_e64 v61, s1, s5, v65, s1
	v_lshlrev_b64 v[64:65], 4, v[48:49]
	v_add_co_u32 v68, s1, 0x1fb0, v59
	s_delay_alu instid0(VALU_DEP_1) | instskip(SKIP_4) | instid1(VALU_DEP_1)
	v_add_co_ci_u32_e64 v69, s1, 0, v61, s1
	s_clause 0x1
	global_load_b128 v[51:54], v[52:53], off offset:4016
	global_load_b128 v[55:58], v[55:56], off offset:16
	v_add_co_u32 v48, s1, s4, v64
	v_add_co_ci_u32_e64 v66, s1, s5, v65, s1
	v_add_co_u32 v64, s1, 0x1000, v59
	s_delay_alu instid0(VALU_DEP_1) | instskip(NEXT) | instid1(VALU_DEP_4)
	v_add_co_ci_u32_e64 v65, s1, 0, v61, s1
	v_add_co_u32 v76, s1, 0x1fb0, v48
	s_delay_alu instid0(VALU_DEP_1) | instskip(SKIP_1) | instid1(VALU_DEP_1)
	v_add_co_ci_u32_e64 v77, s1, 0, v66, s1
	v_add_co_u32 v72, s1, 0x1000, v48
	v_add_co_ci_u32_e64 v73, s1, 0, v66, s1
	s_clause 0x3
	global_load_b128 v[64:67], v[64:65], off offset:4016
	global_load_b128 v[68:71], v[68:69], off offset:16
	;; [unrolled: 1-line block ×4, first 2 shown]
	s_waitcnt vmcnt(0) lgkmcnt(0)
	s_barrier
	buffer_gl0_inv
	v_mul_f64 v[80:81], v[46:47], v[53:54]
	v_mul_f64 v[82:83], v[38:39], v[57:58]
	;; [unrolled: 1-line block ×12, first 2 shown]
	v_fma_f64 v[44:45], v[44:45], v[51:52], -v[80:81]
	v_fma_f64 v[36:37], v[36:37], v[55:56], -v[82:83]
	v_fma_f64 v[46:47], v[46:47], v[51:52], v[53:54]
	v_fma_f64 v[38:39], v[38:39], v[55:56], v[57:58]
	v_fma_f64 v[40:41], v[40:41], v[64:65], -v[84:85]
	v_fma_f64 v[24:25], v[24:25], v[68:69], -v[86:87]
	v_fma_f64 v[42:43], v[42:43], v[64:65], v[66:67]
	v_fma_f64 v[26:27], v[26:27], v[68:69], v[70:71]
	;; [unrolled: 4-line block ×3, first 2 shown]
	v_add_f64 v[68:69], v[20:21], v[44:45]
	v_add_f64 v[51:52], v[44:45], v[36:37]
	v_add_f64 v[44:45], v[44:45], -v[36:37]
	v_add_f64 v[53:54], v[46:47], v[38:39]
	v_add_f64 v[70:71], v[46:47], -v[38:39]
	v_add_f64 v[46:47], v[22:23], v[46:47]
	v_add_f64 v[72:73], v[12:13], v[40:41]
	;; [unrolled: 1-line block ×9, first 2 shown]
	v_add_f64 v[42:43], v[42:43], -v[26:27]
	v_add_f64 v[40:41], v[40:41], -v[24:25]
	;; [unrolled: 1-line block ×4, first 2 shown]
	v_fma_f64 v[51:52], v[51:52], -0.5, v[20:21]
	v_fma_f64 v[53:54], v[53:54], -0.5, v[22:23]
	;; [unrolled: 1-line block ×3, first 2 shown]
	v_add_f64 v[12:13], v[68:69], v[36:37]
	v_fma_f64 v[57:58], v[57:58], -0.5, v[14:15]
	v_add_f64 v[14:15], v[46:47], v[38:39]
	v_fma_f64 v[64:65], v[64:65], -0.5, v[16:17]
	;; [unrolled: 2-line block ×3, first 2 shown]
	v_add_f64 v[18:19], v[74:75], v[26:27]
	v_add_f64 v[20:21], v[76:77], v[32:33]
	;; [unrolled: 1-line block ×3, first 2 shown]
	v_fma_f64 v[24:25], v[70:71], s[2:3], v[51:52]
	v_fma_f64 v[28:29], v[70:71], s[6:7], v[51:52]
	v_fma_f64 v[26:27], v[44:45], s[6:7], v[53:54]
	v_fma_f64 v[30:31], v[44:45], s[2:3], v[53:54]
	v_fma_f64 v[36:37], v[42:43], s[6:7], v[55:56]
	v_fma_f64 v[32:33], v[42:43], s[2:3], v[55:56]
	v_fma_f64 v[38:39], v[40:41], s[2:3], v[57:58]
	v_fma_f64 v[34:35], v[40:41], s[6:7], v[57:58]
	v_fma_f64 v[40:41], v[80:81], s[2:3], v[64:65]
	v_fma_f64 v[44:45], v[80:81], s[6:7], v[64:65]
	v_fma_f64 v[42:43], v[82:83], s[6:7], v[66:67]
	v_fma_f64 v[46:47], v[82:83], s[2:3], v[66:67]
	ds_store_b128 v160, v[12:15]
	ds_store_b128 v160, v[16:19] offset:2496
	ds_store_b128 v160, v[24:27] offset:8320
	;; [unrolled: 1-line block ×8, first 2 shown]
	s_and_saveexec_b32 s1, s0
	s_cbranch_execz .LBB0_17
; %bb.16:
	v_subrev_nc_u32_e32 v12, 52, v60
	s_delay_alu instid0(VALU_DEP_1) | instskip(NEXT) | instid1(VALU_DEP_1)
	v_cndmask_b32_e64 v12, v12, v50, s0
	v_lshlrev_b32_e32 v48, 1, v12
	s_delay_alu instid0(VALU_DEP_1) | instskip(NEXT) | instid1(VALU_DEP_1)
	v_lshlrev_b64 v[12:13], 4, v[48:49]
	v_add_co_u32 v14, s0, s4, v12
	s_delay_alu instid0(VALU_DEP_1) | instskip(NEXT) | instid1(VALU_DEP_2)
	v_add_co_ci_u32_e64 v15, s0, s5, v13, s0
	v_add_co_u32 v12, s0, 0x1000, v14
	s_delay_alu instid0(VALU_DEP_1) | instskip(SKIP_1) | instid1(VALU_DEP_1)
	v_add_co_ci_u32_e64 v13, s0, 0, v15, s0
	v_add_co_u32 v16, s0, 0x1fb0, v14
	v_add_co_ci_u32_e64 v17, s0, 0, v15, s0
	s_clause 0x1
	global_load_b128 v[12:15], v[12:13], off offset:4016
	global_load_b128 v[16:19], v[16:17], off offset:16
	s_waitcnt vmcnt(1)
	v_mul_f64 v[20:21], v[0:1], v[14:15]
	s_waitcnt vmcnt(0)
	v_mul_f64 v[22:23], v[4:5], v[18:19]
	v_mul_f64 v[14:15], v[2:3], v[14:15]
	v_mul_f64 v[18:19], v[6:7], v[18:19]
	s_delay_alu instid0(VALU_DEP_4) | instskip(NEXT) | instid1(VALU_DEP_4)
	v_fma_f64 v[2:3], v[2:3], v[12:13], v[20:21]
	v_fma_f64 v[6:7], v[6:7], v[16:17], v[22:23]
	s_delay_alu instid0(VALU_DEP_4) | instskip(NEXT) | instid1(VALU_DEP_4)
	v_fma_f64 v[0:1], v[0:1], v[12:13], -v[14:15]
	v_fma_f64 v[4:5], v[4:5], v[16:17], -v[18:19]
	s_delay_alu instid0(VALU_DEP_4) | instskip(NEXT) | instid1(VALU_DEP_4)
	v_add_f64 v[18:19], v[10:11], v[2:3]
	v_add_f64 v[12:13], v[2:3], v[6:7]
	s_delay_alu instid0(VALU_DEP_3) | instskip(SKIP_2) | instid1(VALU_DEP_4)
	v_add_f64 v[14:15], v[0:1], v[4:5]
	v_add_f64 v[16:17], v[0:1], -v[4:5]
	v_add_f64 v[0:1], v[8:9], v[0:1]
	v_fma_f64 v[10:11], v[12:13], -0.5, v[10:11]
	v_add_f64 v[12:13], v[2:3], -v[6:7]
	v_fma_f64 v[14:15], v[14:15], -0.5, v[8:9]
	v_add_f64 v[2:3], v[18:19], v[6:7]
	v_add_f64 v[0:1], v[0:1], v[4:5]
	v_fma_f64 v[6:7], v[16:17], s[2:3], v[10:11]
	v_fma_f64 v[10:11], v[16:17], s[6:7], v[10:11]
	;; [unrolled: 1-line block ×4, first 2 shown]
	ds_store_b128 v160, v[0:3] offset:7488
	ds_store_b128 v160, v[8:11] offset:15808
	;; [unrolled: 1-line block ×3, first 2 shown]
.LBB0_17:
	s_or_b32 exec_lo, exec_lo, s1
	s_waitcnt lgkmcnt(0)
	s_barrier
	buffer_gl0_inv
	ds_load_b128 v[4:7], v160
	v_lshlrev_b32_e32 v0, 4, v60
	s_add_u32 s1, s4, 0x60b0
	s_addc_u32 s2, s5, 0
	s_mov_b32 s3, exec_lo
                                        ; implicit-def: $vgpr8_vgpr9
                                        ; implicit-def: $vgpr10_vgpr11
                                        ; implicit-def: $vgpr12_vgpr13
	s_delay_alu instid0(VALU_DEP_1)
	v_sub_nc_u32_e32 v14, 0, v0
                                        ; implicit-def: $vgpr0_vgpr1
	v_cmpx_ne_u32_e32 0, v60
	s_xor_b32 s3, exec_lo, s3
	s_cbranch_execz .LBB0_19
; %bb.18:
	v_mov_b32_e32 v61, 0
	s_delay_alu instid0(VALU_DEP_1) | instskip(NEXT) | instid1(VALU_DEP_1)
	v_lshlrev_b64 v[0:1], 4, v[60:61]
	v_add_co_u32 v0, s0, s1, v0
	s_delay_alu instid0(VALU_DEP_1)
	v_add_co_ci_u32_e64 v1, s0, s2, v1, s0
	global_load_b128 v[15:18], v[0:1], off
	ds_load_b128 v[0:3], v14 offset:24960
	s_waitcnt lgkmcnt(0)
	v_add_f64 v[8:9], v[4:5], -v[0:1]
	v_add_f64 v[10:11], v[6:7], v[2:3]
	v_add_f64 v[2:3], v[6:7], -v[2:3]
	v_add_f64 v[0:1], v[4:5], v[0:1]
	s_delay_alu instid0(VALU_DEP_4) | instskip(NEXT) | instid1(VALU_DEP_4)
	v_mul_f64 v[6:7], v[8:9], 0.5
	v_mul_f64 v[4:5], v[10:11], 0.5
	s_delay_alu instid0(VALU_DEP_4) | instskip(SKIP_1) | instid1(VALU_DEP_3)
	v_mul_f64 v[2:3], v[2:3], 0.5
	s_waitcnt vmcnt(0)
	v_mul_f64 v[8:9], v[6:7], v[17:18]
	s_delay_alu instid0(VALU_DEP_2) | instskip(SKIP_1) | instid1(VALU_DEP_3)
	v_fma_f64 v[10:11], v[4:5], v[17:18], v[2:3]
	v_fma_f64 v[2:3], v[4:5], v[17:18], -v[2:3]
	v_fma_f64 v[12:13], v[0:1], 0.5, v[8:9]
	v_fma_f64 v[0:1], v[0:1], 0.5, -v[8:9]
	s_delay_alu instid0(VALU_DEP_4) | instskip(NEXT) | instid1(VALU_DEP_4)
	v_fma_f64 v[10:11], -v[15:16], v[6:7], v[10:11]
	v_fma_f64 v[2:3], -v[15:16], v[6:7], v[2:3]
	s_delay_alu instid0(VALU_DEP_4) | instskip(NEXT) | instid1(VALU_DEP_4)
	v_fma_f64 v[8:9], v[4:5], v[15:16], v[12:13]
	v_fma_f64 v[0:1], -v[4:5], v[15:16], v[0:1]
	v_dual_mov_b32 v12, v60 :: v_dual_mov_b32 v13, v61
                                        ; implicit-def: $vgpr4_vgpr5
.LBB0_19:
	s_and_not1_saveexec_b32 s0, s3
	s_cbranch_execz .LBB0_21
; %bb.20:
	s_waitcnt lgkmcnt(0)
	v_add_f64 v[8:9], v[4:5], v[6:7]
	v_add_f64 v[0:1], v[4:5], -v[6:7]
	v_mov_b32_e32 v6, 0
	v_mov_b32_e32 v10, 0
	v_dual_mov_b32 v11, 0 :: v_dual_mov_b32 v12, 0
	s_delay_alu instid0(VALU_DEP_2)
	v_mov_b32_e32 v2, v10
	ds_load_b64 v[4:5], v6 offset:12488
	v_mov_b32_e32 v13, 0
	v_mov_b32_e32 v3, v11
	s_waitcnt lgkmcnt(0)
	v_xor_b32_e32 v5, 0x80000000, v5
	ds_store_b64 v6, v[4:5] offset:12488
.LBB0_21:
	s_or_b32 exec_lo, exec_lo, s0
	s_waitcnt lgkmcnt(0)
	v_lshlrev_b64 v[4:5], 4, v[12:13]
	s_delay_alu instid0(VALU_DEP_1) | instskip(NEXT) | instid1(VALU_DEP_1)
	v_add_co_u32 v23, s0, s1, v4
	v_add_co_ci_u32_e64 v24, s0, s2, v5, s0
	s_delay_alu instid0(VALU_DEP_2)
	v_add_co_u32 v12, s0, 0x1000, v23
	global_load_b128 v[15:18], v[23:24], off offset:2496
	v_add_co_ci_u32_e64 v13, s0, 0, v24, s0
	global_load_b128 v[19:22], v[12:13], off offset:896
	ds_store_2addr_b64 v160, v[8:9], v[10:11] offset1:1
	ds_store_b128 v14, v[0:3] offset:24960
	ds_load_b128 v[0:3], v160 offset:2496
	ds_load_b128 v[6:9], v14 offset:22464
	s_waitcnt lgkmcnt(0)
	v_add_f64 v[10:11], v[0:1], -v[6:7]
	v_add_f64 v[25:26], v[2:3], v[8:9]
	v_add_f64 v[2:3], v[2:3], -v[8:9]
	v_add_f64 v[0:1], v[0:1], v[6:7]
	s_delay_alu instid0(VALU_DEP_4) | instskip(NEXT) | instid1(VALU_DEP_4)
	v_mul_f64 v[8:9], v[10:11], 0.5
	v_mul_f64 v[10:11], v[25:26], 0.5
	s_delay_alu instid0(VALU_DEP_4) | instskip(SKIP_1) | instid1(VALU_DEP_3)
	v_mul_f64 v[2:3], v[2:3], 0.5
	s_waitcnt vmcnt(1)
	v_mul_f64 v[6:7], v[8:9], v[17:18]
	s_delay_alu instid0(VALU_DEP_2) | instskip(SKIP_1) | instid1(VALU_DEP_3)
	v_fma_f64 v[25:26], v[10:11], v[17:18], v[2:3]
	v_fma_f64 v[2:3], v[10:11], v[17:18], -v[2:3]
	v_fma_f64 v[17:18], v[0:1], 0.5, v[6:7]
	v_fma_f64 v[0:1], v[0:1], 0.5, -v[6:7]
	s_delay_alu instid0(VALU_DEP_4) | instskip(NEXT) | instid1(VALU_DEP_4)
	v_fma_f64 v[25:26], -v[15:16], v[8:9], v[25:26]
	v_fma_f64 v[2:3], -v[15:16], v[8:9], v[2:3]
	global_load_b128 v[6:9], v[12:13], off offset:3392
	v_fma_f64 v[17:18], v[10:11], v[15:16], v[17:18]
	v_fma_f64 v[0:1], -v[10:11], v[15:16], v[0:1]
	v_add_nc_u32_e32 v10, 0x800, v160
	ds_store_2addr_b64 v10, v[17:18], v[25:26] offset0:56 offset1:57
	ds_store_b128 v14, v[0:3] offset:22464
	ds_load_b128 v[0:3], v160 offset:4992
	ds_load_b128 v[10:13], v14 offset:19968
	s_waitcnt lgkmcnt(0)
	v_add_f64 v[15:16], v[0:1], -v[10:11]
	v_add_f64 v[17:18], v[2:3], v[12:13]
	v_add_f64 v[2:3], v[2:3], -v[12:13]
	v_add_f64 v[0:1], v[0:1], v[10:11]
	s_delay_alu instid0(VALU_DEP_4) | instskip(NEXT) | instid1(VALU_DEP_4)
	v_mul_f64 v[12:13], v[15:16], 0.5
	v_mul_f64 v[15:16], v[17:18], 0.5
	s_delay_alu instid0(VALU_DEP_4) | instskip(SKIP_1) | instid1(VALU_DEP_3)
	v_mul_f64 v[2:3], v[2:3], 0.5
	s_waitcnt vmcnt(1)
	v_mul_f64 v[10:11], v[12:13], v[21:22]
	s_delay_alu instid0(VALU_DEP_2) | instskip(SKIP_1) | instid1(VALU_DEP_3)
	v_fma_f64 v[17:18], v[15:16], v[21:22], v[2:3]
	v_fma_f64 v[2:3], v[15:16], v[21:22], -v[2:3]
	v_fma_f64 v[21:22], v[0:1], 0.5, v[10:11]
	v_fma_f64 v[0:1], v[0:1], 0.5, -v[10:11]
	s_delay_alu instid0(VALU_DEP_4) | instskip(NEXT) | instid1(VALU_DEP_4)
	v_fma_f64 v[17:18], -v[19:20], v[12:13], v[17:18]
	v_fma_f64 v[2:3], -v[19:20], v[12:13], v[2:3]
	v_add_co_u32 v10, s0, 0x2000, v23
	s_delay_alu instid0(VALU_DEP_1)
	v_add_co_ci_u32_e64 v11, s0, 0, v24, s0
	global_load_b128 v[10:13], v[10:11], off offset:1792
	v_fma_f64 v[21:22], v[15:16], v[19:20], v[21:22]
	v_fma_f64 v[0:1], -v[15:16], v[19:20], v[0:1]
	v_add_nc_u32_e32 v15, 0x1000, v160
	ds_store_2addr_b64 v15, v[21:22], v[17:18] offset0:112 offset1:113
	ds_store_b128 v14, v[0:3] offset:19968
	ds_load_b128 v[0:3], v160 offset:7488
	ds_load_b128 v[15:18], v14 offset:17472
	s_waitcnt lgkmcnt(0)
	v_add_f64 v[19:20], v[0:1], -v[15:16]
	v_add_f64 v[21:22], v[2:3], v[17:18]
	v_add_f64 v[2:3], v[2:3], -v[17:18]
	v_add_f64 v[0:1], v[0:1], v[15:16]
	s_delay_alu instid0(VALU_DEP_4) | instskip(NEXT) | instid1(VALU_DEP_4)
	v_mul_f64 v[17:18], v[19:20], 0.5
	v_mul_f64 v[19:20], v[21:22], 0.5
	s_delay_alu instid0(VALU_DEP_4) | instskip(SKIP_1) | instid1(VALU_DEP_3)
	v_mul_f64 v[2:3], v[2:3], 0.5
	s_waitcnt vmcnt(1)
	v_mul_f64 v[15:16], v[17:18], v[8:9]
	s_delay_alu instid0(VALU_DEP_2) | instskip(SKIP_1) | instid1(VALU_DEP_3)
	v_fma_f64 v[21:22], v[19:20], v[8:9], v[2:3]
	v_fma_f64 v[2:3], v[19:20], v[8:9], -v[2:3]
	v_fma_f64 v[8:9], v[0:1], 0.5, v[15:16]
	v_fma_f64 v[0:1], v[0:1], 0.5, -v[15:16]
	s_delay_alu instid0(VALU_DEP_4) | instskip(NEXT) | instid1(VALU_DEP_4)
	v_fma_f64 v[15:16], -v[6:7], v[17:18], v[21:22]
	v_fma_f64 v[2:3], -v[6:7], v[17:18], v[2:3]
	s_delay_alu instid0(VALU_DEP_4) | instskip(NEXT) | instid1(VALU_DEP_4)
	v_fma_f64 v[8:9], v[19:20], v[6:7], v[8:9]
	v_fma_f64 v[0:1], -v[19:20], v[6:7], v[0:1]
	v_add_nc_u32_e32 v6, 0x1800, v160
	ds_store_2addr_b64 v6, v[8:9], v[15:16] offset0:168 offset1:169
	ds_store_b128 v14, v[0:3] offset:17472
	ds_load_b128 v[0:3], v160 offset:9984
	ds_load_b128 v[6:9], v14 offset:14976
	s_waitcnt lgkmcnt(0)
	v_add_f64 v[15:16], v[0:1], -v[6:7]
	v_add_f64 v[17:18], v[2:3], v[8:9]
	v_add_f64 v[2:3], v[2:3], -v[8:9]
	v_add_f64 v[0:1], v[0:1], v[6:7]
	s_delay_alu instid0(VALU_DEP_4) | instskip(NEXT) | instid1(VALU_DEP_4)
	v_mul_f64 v[8:9], v[15:16], 0.5
	v_mul_f64 v[15:16], v[17:18], 0.5
	s_delay_alu instid0(VALU_DEP_4) | instskip(SKIP_1) | instid1(VALU_DEP_3)
	v_mul_f64 v[2:3], v[2:3], 0.5
	s_waitcnt vmcnt(0)
	v_mul_f64 v[6:7], v[8:9], v[12:13]
	s_delay_alu instid0(VALU_DEP_2) | instskip(SKIP_1) | instid1(VALU_DEP_3)
	v_fma_f64 v[17:18], v[15:16], v[12:13], v[2:3]
	v_fma_f64 v[2:3], v[15:16], v[12:13], -v[2:3]
	v_fma_f64 v[12:13], v[0:1], 0.5, v[6:7]
	v_fma_f64 v[0:1], v[0:1], 0.5, -v[6:7]
	s_delay_alu instid0(VALU_DEP_4) | instskip(NEXT) | instid1(VALU_DEP_4)
	v_fma_f64 v[6:7], -v[10:11], v[8:9], v[17:18]
	v_fma_f64 v[2:3], -v[10:11], v[8:9], v[2:3]
	s_delay_alu instid0(VALU_DEP_4) | instskip(NEXT) | instid1(VALU_DEP_4)
	v_fma_f64 v[8:9], v[15:16], v[10:11], v[12:13]
	v_fma_f64 v[0:1], -v[15:16], v[10:11], v[0:1]
	v_add_nc_u32_e32 v10, 0x2000, v160
	ds_store_2addr_b64 v10, v[8:9], v[6:7] offset0:224 offset1:225
	ds_store_b128 v14, v[0:3] offset:14976
	s_waitcnt lgkmcnt(0)
	s_barrier
	buffer_gl0_inv
	s_and_saveexec_b32 s0, vcc_lo
	s_cbranch_execz .LBB0_24
; %bb.22:
	v_add_co_u32 v0, vcc_lo, s8, v62
	v_add_co_ci_u32_e32 v1, vcc_lo, s9, v63, vcc_lo
	s_delay_alu instid0(VALU_DEP_2) | instskip(NEXT) | instid1(VALU_DEP_2)
	v_add_co_u32 v42, vcc_lo, v0, v4
	v_add_co_ci_u32_e32 v43, vcc_lo, v1, v5, vcc_lo
	ds_load_b128 v[2:5], v160
	ds_load_b128 v[6:9], v160 offset:2496
	ds_load_b128 v[10:13], v160 offset:4992
	;; [unrolled: 1-line block ×5, first 2 shown]
	v_add_co_u32 v44, vcc_lo, 0x1000, v42
	ds_load_b128 v[26:29], v160 offset:14976
	ds_load_b128 v[30:33], v160 offset:17472
	;; [unrolled: 1-line block ×4, first 2 shown]
	v_add_co_ci_u32_e32 v45, vcc_lo, 0, v43, vcc_lo
	v_add_co_u32 v46, vcc_lo, 0x2000, v42
	v_add_co_ci_u32_e32 v47, vcc_lo, 0, v43, vcc_lo
	v_add_co_u32 v48, vcc_lo, 0x3000, v42
	v_add_co_ci_u32_e32 v49, vcc_lo, 0, v43, vcc_lo
	s_waitcnt lgkmcnt(9)
	global_store_b128 v[42:43], v[2:5], off
	s_waitcnt lgkmcnt(8)
	global_store_b128 v[42:43], v[6:9], off offset:2496
	s_waitcnt lgkmcnt(7)
	global_store_b128 v[44:45], v[10:13], off offset:896
	;; [unrolled: 2-line block ×5, first 2 shown]
	v_add_co_u32 v2, vcc_lo, 0x4000, v42
	v_add_co_ci_u32_e32 v3, vcc_lo, 0, v43, vcc_lo
	v_add_co_u32 v4, vcc_lo, 0x5000, v42
	v_add_co_ci_u32_e32 v5, vcc_lo, 0, v43, vcc_lo
	v_cmp_eq_u32_e32 vcc_lo, 0x9b, v60
	s_waitcnt lgkmcnt(3)
	global_store_b128 v[48:49], v[26:29], off offset:2688
	s_waitcnt lgkmcnt(2)
	global_store_b128 v[2:3], v[30:33], off offset:1088
	;; [unrolled: 2-line block ×4, first 2 shown]
	s_and_b32 exec_lo, exec_lo, vcc_lo
	s_cbranch_execz .LBB0_24
; %bb.23:
	v_mov_b32_e32 v2, 0
	v_add_co_u32 v0, vcc_lo, 0x6000, v0
	v_add_co_ci_u32_e32 v1, vcc_lo, 0, v1, vcc_lo
	ds_load_b128 v[2:5], v2 offset:24960
	s_waitcnt lgkmcnt(0)
	global_store_b128 v[0:1], v[2:5], off offset:384
.LBB0_24:
	s_nop 0
	s_sendmsg sendmsg(MSG_DEALLOC_VGPRS)
	s_endpgm
	.section	.rodata,"a",@progbits
	.p2align	6, 0x0
	.amdhsa_kernel fft_rtc_fwd_len1560_factors_13_2_2_10_3_wgs_156_tpt_156_dp_ip_CI_unitstride_sbrr_R2C_dirReg
		.amdhsa_group_segment_fixed_size 0
		.amdhsa_private_segment_fixed_size 0
		.amdhsa_kernarg_size 88
		.amdhsa_user_sgpr_count 15
		.amdhsa_user_sgpr_dispatch_ptr 0
		.amdhsa_user_sgpr_queue_ptr 0
		.amdhsa_user_sgpr_kernarg_segment_ptr 1
		.amdhsa_user_sgpr_dispatch_id 0
		.amdhsa_user_sgpr_private_segment_size 0
		.amdhsa_wavefront_size32 1
		.amdhsa_uses_dynamic_stack 0
		.amdhsa_enable_private_segment 0
		.amdhsa_system_sgpr_workgroup_id_x 1
		.amdhsa_system_sgpr_workgroup_id_y 0
		.amdhsa_system_sgpr_workgroup_id_z 0
		.amdhsa_system_sgpr_workgroup_info 0
		.amdhsa_system_vgpr_workitem_id 0
		.amdhsa_next_free_vgpr 219
		.amdhsa_next_free_sgpr 42
		.amdhsa_reserve_vcc 1
		.amdhsa_float_round_mode_32 0
		.amdhsa_float_round_mode_16_64 0
		.amdhsa_float_denorm_mode_32 3
		.amdhsa_float_denorm_mode_16_64 3
		.amdhsa_dx10_clamp 1
		.amdhsa_ieee_mode 1
		.amdhsa_fp16_overflow 0
		.amdhsa_workgroup_processor_mode 1
		.amdhsa_memory_ordered 1
		.amdhsa_forward_progress 0
		.amdhsa_shared_vgpr_count 0
		.amdhsa_exception_fp_ieee_invalid_op 0
		.amdhsa_exception_fp_denorm_src 0
		.amdhsa_exception_fp_ieee_div_zero 0
		.amdhsa_exception_fp_ieee_overflow 0
		.amdhsa_exception_fp_ieee_underflow 0
		.amdhsa_exception_fp_ieee_inexact 0
		.amdhsa_exception_int_div_zero 0
	.end_amdhsa_kernel
	.text
.Lfunc_end0:
	.size	fft_rtc_fwd_len1560_factors_13_2_2_10_3_wgs_156_tpt_156_dp_ip_CI_unitstride_sbrr_R2C_dirReg, .Lfunc_end0-fft_rtc_fwd_len1560_factors_13_2_2_10_3_wgs_156_tpt_156_dp_ip_CI_unitstride_sbrr_R2C_dirReg
                                        ; -- End function
	.section	.AMDGPU.csdata,"",@progbits
; Kernel info:
; codeLenInByte = 12552
; NumSgprs: 44
; NumVgprs: 219
; ScratchSize: 0
; MemoryBound: 0
; FloatMode: 240
; IeeeMode: 1
; LDSByteSize: 0 bytes/workgroup (compile time only)
; SGPRBlocks: 5
; VGPRBlocks: 27
; NumSGPRsForWavesPerEU: 44
; NumVGPRsForWavesPerEU: 219
; Occupancy: 6
; WaveLimiterHint : 1
; COMPUTE_PGM_RSRC2:SCRATCH_EN: 0
; COMPUTE_PGM_RSRC2:USER_SGPR: 15
; COMPUTE_PGM_RSRC2:TRAP_HANDLER: 0
; COMPUTE_PGM_RSRC2:TGID_X_EN: 1
; COMPUTE_PGM_RSRC2:TGID_Y_EN: 0
; COMPUTE_PGM_RSRC2:TGID_Z_EN: 0
; COMPUTE_PGM_RSRC2:TIDIG_COMP_CNT: 0
	.text
	.p2alignl 7, 3214868480
	.fill 96, 4, 3214868480
	.type	__hip_cuid_5a933c5235bba805,@object ; @__hip_cuid_5a933c5235bba805
	.section	.bss,"aw",@nobits
	.globl	__hip_cuid_5a933c5235bba805
__hip_cuid_5a933c5235bba805:
	.byte	0                               ; 0x0
	.size	__hip_cuid_5a933c5235bba805, 1

	.ident	"AMD clang version 19.0.0git (https://github.com/RadeonOpenCompute/llvm-project roc-6.4.0 25133 c7fe45cf4b819c5991fe208aaa96edf142730f1d)"
	.section	".note.GNU-stack","",@progbits
	.addrsig
	.addrsig_sym __hip_cuid_5a933c5235bba805
	.amdgpu_metadata
---
amdhsa.kernels:
  - .args:
      - .actual_access:  read_only
        .address_space:  global
        .offset:         0
        .size:           8
        .value_kind:     global_buffer
      - .offset:         8
        .size:           8
        .value_kind:     by_value
      - .actual_access:  read_only
        .address_space:  global
        .offset:         16
        .size:           8
        .value_kind:     global_buffer
      - .actual_access:  read_only
        .address_space:  global
        .offset:         24
        .size:           8
        .value_kind:     global_buffer
      - .offset:         32
        .size:           8
        .value_kind:     by_value
      - .actual_access:  read_only
        .address_space:  global
        .offset:         40
        .size:           8
        .value_kind:     global_buffer
      - .actual_access:  read_only
        .address_space:  global
        .offset:         48
        .size:           8
        .value_kind:     global_buffer
      - .offset:         56
        .size:           4
        .value_kind:     by_value
      - .actual_access:  read_only
        .address_space:  global
        .offset:         64
        .size:           8
        .value_kind:     global_buffer
      - .actual_access:  read_only
        .address_space:  global
        .offset:         72
        .size:           8
        .value_kind:     global_buffer
      - .address_space:  global
        .offset:         80
        .size:           8
        .value_kind:     global_buffer
    .group_segment_fixed_size: 0
    .kernarg_segment_align: 8
    .kernarg_segment_size: 88
    .language:       OpenCL C
    .language_version:
      - 2
      - 0
    .max_flat_workgroup_size: 156
    .name:           fft_rtc_fwd_len1560_factors_13_2_2_10_3_wgs_156_tpt_156_dp_ip_CI_unitstride_sbrr_R2C_dirReg
    .private_segment_fixed_size: 0
    .sgpr_count:     44
    .sgpr_spill_count: 0
    .symbol:         fft_rtc_fwd_len1560_factors_13_2_2_10_3_wgs_156_tpt_156_dp_ip_CI_unitstride_sbrr_R2C_dirReg.kd
    .uniform_work_group_size: 1
    .uses_dynamic_stack: false
    .vgpr_count:     219
    .vgpr_spill_count: 0
    .wavefront_size: 32
    .workgroup_processor_mode: 1
amdhsa.target:   amdgcn-amd-amdhsa--gfx1100
amdhsa.version:
  - 1
  - 2
...

	.end_amdgpu_metadata
